;; amdgpu-corpus repo=ROCm/rocSPARSE kind=compiled arch=gfx906 opt=O3
	.amdgcn_target "amdgcn-amd-amdhsa--gfx906"
	.amdhsa_code_object_version 6
	.section	.text._ZN9rocsparseL28csrgeam_nnz_multipass_deviceILj256ELj32EiiiEEvllPKT1_PKT2_S3_S6_PT3_21rocsparse_index_base_S9_,"axG",@progbits,_ZN9rocsparseL28csrgeam_nnz_multipass_deviceILj256ELj32EiiiEEvllPKT1_PKT2_S3_S6_PT3_21rocsparse_index_base_S9_,comdat
	.globl	_ZN9rocsparseL28csrgeam_nnz_multipass_deviceILj256ELj32EiiiEEvllPKT1_PKT2_S3_S6_PT3_21rocsparse_index_base_S9_ ; -- Begin function _ZN9rocsparseL28csrgeam_nnz_multipass_deviceILj256ELj32EiiiEEvllPKT1_PKT2_S3_S6_PT3_21rocsparse_index_base_S9_
	.p2align	8
	.type	_ZN9rocsparseL28csrgeam_nnz_multipass_deviceILj256ELj32EiiiEEvllPKT1_PKT2_S3_S6_PT3_21rocsparse_index_base_S9_,@function
_ZN9rocsparseL28csrgeam_nnz_multipass_deviceILj256ELj32EiiiEEvllPKT1_PKT2_S3_S6_PT3_21rocsparse_index_base_S9_: ; @_ZN9rocsparseL28csrgeam_nnz_multipass_deviceILj256ELj32EiiiEEvllPKT1_PKT2_S3_S6_PT3_21rocsparse_index_base_S9_
; %bb.0:
	s_load_dwordx4 s[0:3], s[4:5], 0x0
	s_lshl_b32 s6, s6, 3
	v_lshrrev_b32_e32 v1, 5, v0
	s_and_b32 s6, s6, 0x7fffff8
	v_or_b32_e32 v1, s6, v1
	v_mov_b32_e32 v2, 0
	s_waitcnt lgkmcnt(0)
	v_cmp_gt_i64_e32 vcc, s[0:1], v[1:2]
	s_and_saveexec_b64 s[0:1], vcc
	s_cbranch_execz .LBB0_31
; %bb.1:
	s_load_dwordx4 s[8:11], s[4:5], 0x10
	s_load_dwordx2 s[0:1], s[4:5], 0x20
	v_lshlrev_b32_e32 v8, 2, v1
	s_load_dwordx2 s[6:7], s[4:5], 0x38
	s_waitcnt lgkmcnt(0)
	global_load_dwordx2 v[3:4], v8, s[8:9]
	global_load_dwordx2 v[1:2], v8, s[0:1]
	s_waitcnt vmcnt(1)
	v_cmp_ge_i32_e32 vcc, v3, v4
	s_and_saveexec_b64 s[0:1], vcc
	s_xor_b64 s[0:1], exec, s[0:1]
	s_or_saveexec_b64 s[0:1], s[0:1]
	v_subrev_u32_e32 v5, s6, v3
	v_mov_b32_e32 v3, s2
	s_xor_b64 exec, exec, s[0:1]
	s_cbranch_execz .LBB0_3
; %bb.2:
	v_ashrrev_i32_e32 v6, 31, v5
	v_lshlrev_b64 v[6:7], 2, v[5:6]
	v_mov_b32_e32 v3, s11
	v_add_co_u32_e32 v6, vcc, s10, v6
	v_addc_co_u32_e32 v7, vcc, v3, v7, vcc
	global_load_dword v3, v[6:7], off
	s_waitcnt vmcnt(0)
	v_subrev_u32_e32 v3, s6, v3
.LBB0_3:
	s_or_b64 exec, exec, s[0:1]
	s_load_dwordx2 s[8:9], s[4:5], 0x28
	s_waitcnt vmcnt(0)
	v_cmp_ge_i32_e32 vcc, v1, v2
	v_mov_b32_e32 v9, s2
	s_and_saveexec_b64 s[0:1], vcc
	s_xor_b64 s[0:1], exec, s[0:1]
; %bb.4:
	v_mov_b32_e32 v9, s2
; %bb.5:
	s_or_saveexec_b64 s[0:1], s[0:1]
	s_load_dwordx2 s[4:5], s[4:5], 0x30
	v_subrev_u32_e32 v6, s7, v1
	v_mov_b32_e32 v1, v9
	s_xor_b64 exec, exec, s[0:1]
	s_cbranch_execz .LBB0_7
; %bb.6:
	v_ashrrev_i32_e32 v7, 31, v6
	v_lshlrev_b64 v[10:11], 2, v[6:7]
	s_waitcnt lgkmcnt(0)
	v_mov_b32_e32 v1, s9
	v_add_co_u32_e32 v10, vcc, s8, v10
	v_addc_co_u32_e32 v11, vcc, v1, v11, vcc
	global_load_dword v1, v[10:11], off
	s_waitcnt vmcnt(0)
	v_subrev_u32_e32 v1, s7, v1
.LBB0_7:
	s_or_b64 exec, exec, s[0:1]
	v_subrev_u32_e32 v11, s6, v4
	v_min_i32_e32 v4, v1, v3
	v_mbcnt_lo_u32_b32 v1, -1, 0
	v_mbcnt_hi_u32_b32 v1, -1, v1
	v_and_b32_e32 v10, 31, v0
	v_and_b32_e32 v3, 64, v1
	;; [unrolled: 1-line block ×3, first 2 shown]
	v_add_u32_e32 v0, v5, v10
	v_add_u32_e32 v3, 64, v3
	v_xor_b32_e32 v5, 16, v1
	v_cmp_lt_i32_e32 vcc, v5, v3
	v_cndmask_b32_e32 v5, v1, v5, vcc
	v_subrev_u32_e32 v12, s7, v2
	v_add_u32_e32 v2, v6, v10
	v_lshlrev_b32_e32 v6, 2, v5
	v_xor_b32_e32 v5, 8, v1
	v_cmp_lt_i32_e32 vcc, v5, v3
	v_cndmask_b32_e32 v5, v1, v5, vcc
	v_lshlrev_b32_e32 v13, 2, v5
	v_xor_b32_e32 v5, 4, v1
	v_cmp_lt_i32_e32 vcc, v5, v3
	v_cndmask_b32_e32 v5, v1, v5, vcc
	;; [unrolled: 4-line block ×4, first 2 shown]
	s_mov_b32 s20, 0
	v_lshlrev_b32_e32 v16, 2, v1
	s_mov_b64 s[12:13], 0
	v_mov_b32_e32 v17, 0
	v_mov_b32_e32 v18, 1
	s_branch .LBB0_10
.LBB0_8:                                ;   in Loop: Header=BB0_10 Depth=1
	s_or_b64 exec, exec, s[16:17]
.LBB0_9:                                ;   in Loop: Header=BB0_10 Depth=1
	s_or_b64 exec, exec, s[14:15]
	ds_bpermute_b32 v1, v6, v19
	s_waitcnt lgkmcnt(0)
	ds_read_u8 v4, v5
	v_min_i32_e32 v1, v1, v19
	ds_bpermute_b32 v3, v13, v1
	s_waitcnt lgkmcnt(1)
	v_cmp_ne_u16_e32 vcc, 0, v4
	s_bcnt1_i32_b64 s0, vcc
	s_add_i32 s20, s20, s0
	s_waitcnt lgkmcnt(0)
	v_min_i32_e32 v1, v3, v1
	ds_bpermute_b32 v3, v14, v1
	s_waitcnt lgkmcnt(0)
	v_min_i32_e32 v1, v3, v1
	ds_bpermute_b32 v3, v15, v1
	;; [unrolled: 3-line block ×3, first 2 shown]
	s_waitcnt lgkmcnt(0)
	v_min_i32_e32 v4, v3, v1
	v_ashrrev_i32_e32 v5, 31, v4
	v_cmp_le_i64_e32 vcc, s[2:3], v[4:5]
	v_mov_b32_e32 v1, s20
	s_or_b64 s[12:13], vcc, s[12:13]
	s_andn2_b64 exec, exec, s[12:13]
	s_cbranch_execz .LBB0_29
.LBB0_10:                               ; =>This Loop Header: Depth=1
                                        ;     Child Loop BB0_13 Depth 2
                                        ;     Child Loop BB0_23 Depth 2
	v_add_u32_e32 v5, v7, v10
	v_cmp_lt_i32_e32 vcc, v0, v11
	v_mov_b32_e32 v19, v9
	ds_write_b8 v5, v17
	s_waitcnt lgkmcnt(0)
	s_and_saveexec_b64 s[14:15], vcc
	s_cbranch_execz .LBB0_20
; %bb.11:                               ;   in Loop: Header=BB0_10 Depth=1
	s_mov_b64 s[16:17], 0
	v_mov_b32_e32 v19, v9
	s_branch .LBB0_13
.LBB0_12:                               ;   in Loop: Header=BB0_13 Depth=2
	s_or_b64 exec, exec, s[18:19]
	s_and_b64 s[0:1], exec, s[0:1]
	s_or_b64 s[16:17], s[0:1], s[16:17]
	s_andn2_b64 exec, exec, s[16:17]
	s_cbranch_execz .LBB0_19
.LBB0_13:                               ;   Parent Loop BB0_10 Depth=1
                                        ; =>  This Inner Loop Header: Depth=2
	v_ashrrev_i32_e32 v1, 31, v0
	v_lshlrev_b64 v[20:21], 2, v[0:1]
	v_mov_b32_e32 v1, s11
	v_add_co_u32_e32 v20, vcc, s10, v20
	v_addc_co_u32_e32 v21, vcc, v1, v21, vcc
	global_load_dword v1, v[20:21], off
	s_waitcnt vmcnt(0)
	v_subrev_u32_e32 v3, s6, v1
	v_sub_u32_e32 v1, v3, v4
	v_cmp_gt_u32_e32 vcc, 32, v1
	v_cmp_lt_u32_e64 s[0:1], 31, v1
	s_and_saveexec_b64 s[18:19], s[0:1]
	s_xor_b64 s[0:1], exec, s[18:19]
	s_cbranch_execnz .LBB0_16
; %bb.14:                               ;   in Loop: Header=BB0_13 Depth=2
	s_andn2_saveexec_b64 s[0:1], s[0:1]
	s_cbranch_execnz .LBB0_17
.LBB0_15:                               ;   in Loop: Header=BB0_13 Depth=2
	s_or_b64 exec, exec, s[0:1]
	s_mov_b64 s[0:1], -1
	s_and_saveexec_b64 s[18:19], vcc
	s_cbranch_execz .LBB0_12
	s_branch .LBB0_18
.LBB0_16:                               ;   in Loop: Header=BB0_13 Depth=2
	v_min_i32_e32 v19, v3, v19
                                        ; implicit-def: $vgpr1
	s_andn2_saveexec_b64 s[0:1], s[0:1]
	s_cbranch_execz .LBB0_15
.LBB0_17:                               ;   in Loop: Header=BB0_13 Depth=2
	v_add_u32_e32 v1, v7, v1
	ds_write_b8 v1, v18
	s_or_b64 exec, exec, s[0:1]
	s_mov_b64 s[0:1], -1
	s_and_saveexec_b64 s[18:19], vcc
	s_cbranch_execz .LBB0_12
.LBB0_18:                               ;   in Loop: Header=BB0_13 Depth=2
	v_add_u32_e32 v0, 32, v0
	v_cmp_ge_i32_e32 vcc, v0, v11
	s_orn2_b64 s[0:1], vcc, exec
	s_branch .LBB0_12
.LBB0_19:                               ;   in Loop: Header=BB0_10 Depth=1
	s_or_b64 exec, exec, s[16:17]
.LBB0_20:                               ;   in Loop: Header=BB0_10 Depth=1
	s_or_b64 exec, exec, s[14:15]
	v_cmp_lt_i32_e32 vcc, v2, v12
	s_and_saveexec_b64 s[14:15], vcc
	s_cbranch_execz .LBB0_9
; %bb.21:                               ;   in Loop: Header=BB0_10 Depth=1
	s_mov_b64 s[16:17], 0
	s_branch .LBB0_23
.LBB0_22:                               ;   in Loop: Header=BB0_23 Depth=2
	s_or_b64 exec, exec, s[18:19]
	s_and_b64 s[0:1], exec, s[0:1]
	s_or_b64 s[16:17], s[0:1], s[16:17]
	s_andn2_b64 exec, exec, s[16:17]
	s_cbranch_execz .LBB0_8
.LBB0_23:                               ;   Parent Loop BB0_10 Depth=1
                                        ; =>  This Inner Loop Header: Depth=2
	v_ashrrev_i32_e32 v3, 31, v2
	v_lshlrev_b64 v[20:21], 2, v[2:3]
	v_mov_b32_e32 v1, s9
	v_add_co_u32_e32 v20, vcc, s8, v20
	v_addc_co_u32_e32 v21, vcc, v1, v21, vcc
	global_load_dword v1, v[20:21], off
	s_waitcnt vmcnt(0)
	v_subrev_u32_e32 v3, s7, v1
	v_sub_u32_e32 v1, v3, v4
	v_cmp_gt_u32_e32 vcc, 32, v1
	v_cmp_lt_u32_e64 s[0:1], 31, v1
	s_and_saveexec_b64 s[18:19], s[0:1]
	s_xor_b64 s[0:1], exec, s[18:19]
	s_cbranch_execnz .LBB0_26
; %bb.24:                               ;   in Loop: Header=BB0_23 Depth=2
	s_andn2_saveexec_b64 s[0:1], s[0:1]
	s_cbranch_execnz .LBB0_27
.LBB0_25:                               ;   in Loop: Header=BB0_23 Depth=2
	s_or_b64 exec, exec, s[0:1]
	s_mov_b64 s[0:1], -1
	s_and_saveexec_b64 s[18:19], vcc
	s_cbranch_execz .LBB0_22
	s_branch .LBB0_28
.LBB0_26:                               ;   in Loop: Header=BB0_23 Depth=2
	v_min_i32_e32 v19, v3, v19
                                        ; implicit-def: $vgpr1
	s_andn2_saveexec_b64 s[0:1], s[0:1]
	s_cbranch_execz .LBB0_25
.LBB0_27:                               ;   in Loop: Header=BB0_23 Depth=2
	v_add_u32_e32 v1, v7, v1
	ds_write_b8 v1, v18
	s_or_b64 exec, exec, s[0:1]
	s_mov_b64 s[0:1], -1
	s_and_saveexec_b64 s[18:19], vcc
	s_cbranch_execz .LBB0_22
.LBB0_28:                               ;   in Loop: Header=BB0_23 Depth=2
	v_add_u32_e32 v2, 32, v2
	v_cmp_ge_i32_e32 vcc, v2, v12
	s_orn2_b64 s[0:1], vcc, exec
	s_branch .LBB0_22
.LBB0_29:
	s_or_b64 exec, exec, s[12:13]
	v_cmp_eq_u32_e32 vcc, 31, v10
	s_and_b64 exec, exec, vcc
	s_cbranch_execz .LBB0_31
; %bb.30:
	global_store_dword v8, v1, s[4:5]
.LBB0_31:
	s_endpgm
	.section	.rodata,"a",@progbits
	.p2align	6, 0x0
	.amdhsa_kernel _ZN9rocsparseL28csrgeam_nnz_multipass_deviceILj256ELj32EiiiEEvllPKT1_PKT2_S3_S6_PT3_21rocsparse_index_base_S9_
		.amdhsa_group_segment_fixed_size 256
		.amdhsa_private_segment_fixed_size 0
		.amdhsa_kernarg_size 64
		.amdhsa_user_sgpr_count 6
		.amdhsa_user_sgpr_private_segment_buffer 1
		.amdhsa_user_sgpr_dispatch_ptr 0
		.amdhsa_user_sgpr_queue_ptr 0
		.amdhsa_user_sgpr_kernarg_segment_ptr 1
		.amdhsa_user_sgpr_dispatch_id 0
		.amdhsa_user_sgpr_flat_scratch_init 0
		.amdhsa_user_sgpr_private_segment_size 0
		.amdhsa_uses_dynamic_stack 0
		.amdhsa_system_sgpr_private_segment_wavefront_offset 0
		.amdhsa_system_sgpr_workgroup_id_x 1
		.amdhsa_system_sgpr_workgroup_id_y 0
		.amdhsa_system_sgpr_workgroup_id_z 0
		.amdhsa_system_sgpr_workgroup_info 0
		.amdhsa_system_vgpr_workitem_id 0
		.amdhsa_next_free_vgpr 22
		.amdhsa_next_free_sgpr 21
		.amdhsa_reserve_vcc 1
		.amdhsa_reserve_flat_scratch 0
		.amdhsa_float_round_mode_32 0
		.amdhsa_float_round_mode_16_64 0
		.amdhsa_float_denorm_mode_32 3
		.amdhsa_float_denorm_mode_16_64 3
		.amdhsa_dx10_clamp 1
		.amdhsa_ieee_mode 1
		.amdhsa_fp16_overflow 0
		.amdhsa_exception_fp_ieee_invalid_op 0
		.amdhsa_exception_fp_denorm_src 0
		.amdhsa_exception_fp_ieee_div_zero 0
		.amdhsa_exception_fp_ieee_overflow 0
		.amdhsa_exception_fp_ieee_underflow 0
		.amdhsa_exception_fp_ieee_inexact 0
		.amdhsa_exception_int_div_zero 0
	.end_amdhsa_kernel
	.section	.text._ZN9rocsparseL28csrgeam_nnz_multipass_deviceILj256ELj32EiiiEEvllPKT1_PKT2_S3_S6_PT3_21rocsparse_index_base_S9_,"axG",@progbits,_ZN9rocsparseL28csrgeam_nnz_multipass_deviceILj256ELj32EiiiEEvllPKT1_PKT2_S3_S6_PT3_21rocsparse_index_base_S9_,comdat
.Lfunc_end0:
	.size	_ZN9rocsparseL28csrgeam_nnz_multipass_deviceILj256ELj32EiiiEEvllPKT1_PKT2_S3_S6_PT3_21rocsparse_index_base_S9_, .Lfunc_end0-_ZN9rocsparseL28csrgeam_nnz_multipass_deviceILj256ELj32EiiiEEvllPKT1_PKT2_S3_S6_PT3_21rocsparse_index_base_S9_
                                        ; -- End function
	.set _ZN9rocsparseL28csrgeam_nnz_multipass_deviceILj256ELj32EiiiEEvllPKT1_PKT2_S3_S6_PT3_21rocsparse_index_base_S9_.num_vgpr, 22
	.set _ZN9rocsparseL28csrgeam_nnz_multipass_deviceILj256ELj32EiiiEEvllPKT1_PKT2_S3_S6_PT3_21rocsparse_index_base_S9_.num_agpr, 0
	.set _ZN9rocsparseL28csrgeam_nnz_multipass_deviceILj256ELj32EiiiEEvllPKT1_PKT2_S3_S6_PT3_21rocsparse_index_base_S9_.numbered_sgpr, 21
	.set _ZN9rocsparseL28csrgeam_nnz_multipass_deviceILj256ELj32EiiiEEvllPKT1_PKT2_S3_S6_PT3_21rocsparse_index_base_S9_.num_named_barrier, 0
	.set _ZN9rocsparseL28csrgeam_nnz_multipass_deviceILj256ELj32EiiiEEvllPKT1_PKT2_S3_S6_PT3_21rocsparse_index_base_S9_.private_seg_size, 0
	.set _ZN9rocsparseL28csrgeam_nnz_multipass_deviceILj256ELj32EiiiEEvllPKT1_PKT2_S3_S6_PT3_21rocsparse_index_base_S9_.uses_vcc, 1
	.set _ZN9rocsparseL28csrgeam_nnz_multipass_deviceILj256ELj32EiiiEEvllPKT1_PKT2_S3_S6_PT3_21rocsparse_index_base_S9_.uses_flat_scratch, 0
	.set _ZN9rocsparseL28csrgeam_nnz_multipass_deviceILj256ELj32EiiiEEvllPKT1_PKT2_S3_S6_PT3_21rocsparse_index_base_S9_.has_dyn_sized_stack, 0
	.set _ZN9rocsparseL28csrgeam_nnz_multipass_deviceILj256ELj32EiiiEEvllPKT1_PKT2_S3_S6_PT3_21rocsparse_index_base_S9_.has_recursion, 0
	.set _ZN9rocsparseL28csrgeam_nnz_multipass_deviceILj256ELj32EiiiEEvllPKT1_PKT2_S3_S6_PT3_21rocsparse_index_base_S9_.has_indirect_call, 0
	.section	.AMDGPU.csdata,"",@progbits
; Kernel info:
; codeLenInByte = 1020
; TotalNumSgprs: 25
; NumVgprs: 22
; ScratchSize: 0
; MemoryBound: 0
; FloatMode: 240
; IeeeMode: 1
; LDSByteSize: 256 bytes/workgroup (compile time only)
; SGPRBlocks: 3
; VGPRBlocks: 5
; NumSGPRsForWavesPerEU: 25
; NumVGPRsForWavesPerEU: 22
; Occupancy: 10
; WaveLimiterHint : 1
; COMPUTE_PGM_RSRC2:SCRATCH_EN: 0
; COMPUTE_PGM_RSRC2:USER_SGPR: 6
; COMPUTE_PGM_RSRC2:TRAP_HANDLER: 0
; COMPUTE_PGM_RSRC2:TGID_X_EN: 1
; COMPUTE_PGM_RSRC2:TGID_Y_EN: 0
; COMPUTE_PGM_RSRC2:TGID_Z_EN: 0
; COMPUTE_PGM_RSRC2:TIDIG_COMP_CNT: 0
	.section	.text._ZN9rocsparseL28csrgeam_nnz_multipass_deviceILj256ELj32EiilEEvllPKT1_PKT2_S3_S6_PT3_21rocsparse_index_base_S9_,"axG",@progbits,_ZN9rocsparseL28csrgeam_nnz_multipass_deviceILj256ELj32EiilEEvllPKT1_PKT2_S3_S6_PT3_21rocsparse_index_base_S9_,comdat
	.globl	_ZN9rocsparseL28csrgeam_nnz_multipass_deviceILj256ELj32EiilEEvllPKT1_PKT2_S3_S6_PT3_21rocsparse_index_base_S9_ ; -- Begin function _ZN9rocsparseL28csrgeam_nnz_multipass_deviceILj256ELj32EiilEEvllPKT1_PKT2_S3_S6_PT3_21rocsparse_index_base_S9_
	.p2align	8
	.type	_ZN9rocsparseL28csrgeam_nnz_multipass_deviceILj256ELj32EiilEEvllPKT1_PKT2_S3_S6_PT3_21rocsparse_index_base_S9_,@function
_ZN9rocsparseL28csrgeam_nnz_multipass_deviceILj256ELj32EiilEEvllPKT1_PKT2_S3_S6_PT3_21rocsparse_index_base_S9_: ; @_ZN9rocsparseL28csrgeam_nnz_multipass_deviceILj256ELj32EiilEEvllPKT1_PKT2_S3_S6_PT3_21rocsparse_index_base_S9_
; %bb.0:
	s_load_dwordx4 s[0:3], s[4:5], 0x0
	s_lshl_b32 s6, s6, 3
	v_lshrrev_b32_e32 v1, 5, v0
	s_and_b32 s6, s6, 0x7fffff8
	v_or_b32_e32 v1, s6, v1
	v_mov_b32_e32 v2, 0
	s_waitcnt lgkmcnt(0)
	v_cmp_gt_i64_e32 vcc, s[0:1], v[1:2]
	s_and_saveexec_b64 s[0:1], vcc
	s_cbranch_execz .LBB1_31
; %bb.1:
	s_load_dwordx4 s[8:11], s[4:5], 0x10
	s_load_dwordx2 s[0:1], s[4:5], 0x20
	v_lshlrev_b32_e32 v6, 2, v1
	s_load_dwordx2 s[6:7], s[4:5], 0x38
	s_waitcnt lgkmcnt(0)
	global_load_dwordx2 v[4:5], v6, s[8:9]
	global_load_dwordx2 v[2:3], v6, s[0:1]
	s_waitcnt vmcnt(1)
	v_cmp_ge_i32_e32 vcc, v4, v5
	s_and_saveexec_b64 s[0:1], vcc
	s_xor_b64 s[0:1], exec, s[0:1]
	s_or_saveexec_b64 s[0:1], s[0:1]
	v_subrev_u32_e32 v7, s6, v4
	v_mov_b32_e32 v4, s2
	s_xor_b64 exec, exec, s[0:1]
	s_cbranch_execz .LBB1_3
; %bb.2:
	v_ashrrev_i32_e32 v8, 31, v7
	v_lshlrev_b64 v[8:9], 2, v[7:8]
	v_mov_b32_e32 v4, s11
	v_add_co_u32_e32 v8, vcc, s10, v8
	v_addc_co_u32_e32 v9, vcc, v4, v9, vcc
	global_load_dword v4, v[8:9], off
	s_waitcnt vmcnt(0)
	v_subrev_u32_e32 v4, s6, v4
.LBB1_3:
	s_or_b64 exec, exec, s[0:1]
	s_load_dwordx2 s[8:9], s[4:5], 0x28
	s_waitcnt vmcnt(0)
	v_cmp_ge_i32_e32 vcc, v2, v3
	v_mov_b32_e32 v10, s2
	s_and_saveexec_b64 s[0:1], vcc
	s_xor_b64 s[0:1], exec, s[0:1]
; %bb.4:
	v_mov_b32_e32 v10, s2
; %bb.5:
	s_or_saveexec_b64 s[0:1], s[0:1]
	s_load_dwordx2 s[4:5], s[4:5], 0x30
	v_subrev_u32_e32 v8, s7, v2
	v_mov_b32_e32 v2, v10
	s_xor_b64 exec, exec, s[0:1]
	s_cbranch_execz .LBB1_7
; %bb.6:
	v_ashrrev_i32_e32 v9, 31, v8
	v_lshlrev_b64 v[11:12], 2, v[8:9]
	s_waitcnt lgkmcnt(0)
	v_mov_b32_e32 v2, s9
	v_add_co_u32_e32 v11, vcc, s8, v11
	v_addc_co_u32_e32 v12, vcc, v2, v12, vcc
	global_load_dword v2, v[11:12], off
	s_waitcnt vmcnt(0)
	v_subrev_u32_e32 v2, s7, v2
.LBB1_7:
	s_or_b64 exec, exec, s[0:1]
	v_subrev_u32_e32 v12, s7, v3
	v_mbcnt_lo_u32_b32 v3, -1, 0
	v_mbcnt_hi_u32_b32 v3, -1, v3
	v_and_b32_e32 v9, 0xe0, v0
	v_subrev_u32_e32 v11, s6, v5
	v_and_b32_e32 v0, 31, v0
	v_and_b32_e32 v5, 64, v3
	v_min_i32_e32 v6, v2, v4
	v_add_u32_e32 v2, v7, v0
	v_add_u32_e32 v5, 64, v5
	v_xor_b32_e32 v7, 16, v3
	v_cmp_lt_i32_e32 vcc, v7, v5
	v_cndmask_b32_e32 v7, v3, v7, vcc
	v_lshlrev_b32_e32 v13, 2, v7
	v_xor_b32_e32 v7, 8, v3
	v_cmp_lt_i32_e32 vcc, v7, v5
	v_cndmask_b32_e32 v7, v3, v7, vcc
	v_lshlrev_b32_e32 v14, 2, v7
	;; [unrolled: 4-line block ×4, first 2 shown]
	v_xor_b32_e32 v7, 1, v3
	v_cmp_lt_i32_e32 vcc, v7, v5
	v_cndmask_b32_e32 v3, v3, v7, vcc
	v_add_u32_e32 v4, v8, v0
	v_lshlrev_b32_e32 v17, 2, v3
	s_mov_b64 s[12:13], 0
	v_mov_b32_e32 v18, 0
	v_mov_b32_e32 v19, 1
	s_mov_b64 s[14:15], 0
	s_branch .LBB1_10
.LBB1_8:                                ;   in Loop: Header=BB1_10 Depth=1
	s_or_b64 exec, exec, s[18:19]
.LBB1_9:                                ;   in Loop: Header=BB1_10 Depth=1
	s_or_b64 exec, exec, s[16:17]
	ds_bpermute_b32 v3, v13, v8
	s_waitcnt lgkmcnt(0)
	ds_read_u8 v6, v7
	v_min_i32_e32 v3, v3, v8
	ds_bpermute_b32 v5, v14, v3
	s_waitcnt lgkmcnt(1)
	v_cmp_ne_u16_e32 vcc, 0, v6
	s_bcnt1_i32_b64 s0, vcc
	s_add_u32 s14, s0, s14
	s_addc_u32 s15, 0, s15
	s_waitcnt lgkmcnt(0)
	v_min_i32_e32 v3, v5, v3
	ds_bpermute_b32 v5, v15, v3
	s_waitcnt lgkmcnt(0)
	v_min_i32_e32 v3, v5, v3
	ds_bpermute_b32 v5, v16, v3
	;; [unrolled: 3-line block ×3, first 2 shown]
	s_waitcnt lgkmcnt(0)
	v_min_i32_e32 v6, v5, v3
	v_ashrrev_i32_e32 v7, 31, v6
	v_cmp_le_i64_e32 vcc, s[2:3], v[6:7]
	v_mov_b32_e32 v7, s14
	s_or_b64 s[12:13], vcc, s[12:13]
	v_mov_b32_e32 v8, s15
	s_andn2_b64 exec, exec, s[12:13]
	s_cbranch_execz .LBB1_29
.LBB1_10:                               ; =>This Loop Header: Depth=1
                                        ;     Child Loop BB1_13 Depth 2
                                        ;     Child Loop BB1_23 Depth 2
	v_add_u32_e32 v7, v9, v0
	v_cmp_lt_i32_e32 vcc, v2, v11
	v_mov_b32_e32 v8, v10
	ds_write_b8 v7, v18
	s_waitcnt lgkmcnt(0)
	s_and_saveexec_b64 s[16:17], vcc
	s_cbranch_execz .LBB1_20
; %bb.11:                               ;   in Loop: Header=BB1_10 Depth=1
	s_mov_b64 s[18:19], 0
	v_mov_b32_e32 v8, v10
	s_branch .LBB1_13
.LBB1_12:                               ;   in Loop: Header=BB1_13 Depth=2
	s_or_b64 exec, exec, s[20:21]
	s_and_b64 s[0:1], exec, s[0:1]
	s_or_b64 s[18:19], s[0:1], s[18:19]
	s_andn2_b64 exec, exec, s[18:19]
	s_cbranch_execz .LBB1_19
.LBB1_13:                               ;   Parent Loop BB1_10 Depth=1
                                        ; =>  This Inner Loop Header: Depth=2
	v_ashrrev_i32_e32 v3, 31, v2
	v_lshlrev_b64 v[20:21], 2, v[2:3]
	v_mov_b32_e32 v3, s11
	v_add_co_u32_e32 v20, vcc, s10, v20
	v_addc_co_u32_e32 v21, vcc, v3, v21, vcc
	global_load_dword v3, v[20:21], off
	s_waitcnt vmcnt(0)
	v_subrev_u32_e32 v5, s6, v3
	v_sub_u32_e32 v3, v5, v6
	v_cmp_gt_u32_e32 vcc, 32, v3
	v_cmp_lt_u32_e64 s[0:1], 31, v3
	s_and_saveexec_b64 s[20:21], s[0:1]
	s_xor_b64 s[0:1], exec, s[20:21]
	s_cbranch_execnz .LBB1_16
; %bb.14:                               ;   in Loop: Header=BB1_13 Depth=2
	s_andn2_saveexec_b64 s[0:1], s[0:1]
	s_cbranch_execnz .LBB1_17
.LBB1_15:                               ;   in Loop: Header=BB1_13 Depth=2
	s_or_b64 exec, exec, s[0:1]
	s_mov_b64 s[0:1], -1
	s_and_saveexec_b64 s[20:21], vcc
	s_cbranch_execz .LBB1_12
	s_branch .LBB1_18
.LBB1_16:                               ;   in Loop: Header=BB1_13 Depth=2
	v_min_i32_e32 v8, v5, v8
                                        ; implicit-def: $vgpr3
	s_andn2_saveexec_b64 s[0:1], s[0:1]
	s_cbranch_execz .LBB1_15
.LBB1_17:                               ;   in Loop: Header=BB1_13 Depth=2
	v_add_u32_e32 v3, v9, v3
	ds_write_b8 v3, v19
	s_or_b64 exec, exec, s[0:1]
	s_mov_b64 s[0:1], -1
	s_and_saveexec_b64 s[20:21], vcc
	s_cbranch_execz .LBB1_12
.LBB1_18:                               ;   in Loop: Header=BB1_13 Depth=2
	v_add_u32_e32 v2, 32, v2
	v_cmp_ge_i32_e32 vcc, v2, v11
	s_orn2_b64 s[0:1], vcc, exec
	s_branch .LBB1_12
.LBB1_19:                               ;   in Loop: Header=BB1_10 Depth=1
	s_or_b64 exec, exec, s[18:19]
.LBB1_20:                               ;   in Loop: Header=BB1_10 Depth=1
	s_or_b64 exec, exec, s[16:17]
	v_cmp_lt_i32_e32 vcc, v4, v12
	s_and_saveexec_b64 s[16:17], vcc
	s_cbranch_execz .LBB1_9
; %bb.21:                               ;   in Loop: Header=BB1_10 Depth=1
	s_mov_b64 s[18:19], 0
	s_branch .LBB1_23
.LBB1_22:                               ;   in Loop: Header=BB1_23 Depth=2
	s_or_b64 exec, exec, s[20:21]
	s_and_b64 s[0:1], exec, s[0:1]
	s_or_b64 s[18:19], s[0:1], s[18:19]
	s_andn2_b64 exec, exec, s[18:19]
	s_cbranch_execz .LBB1_8
.LBB1_23:                               ;   Parent Loop BB1_10 Depth=1
                                        ; =>  This Inner Loop Header: Depth=2
	v_ashrrev_i32_e32 v5, 31, v4
	v_lshlrev_b64 v[20:21], 2, v[4:5]
	v_mov_b32_e32 v3, s9
	v_add_co_u32_e32 v20, vcc, s8, v20
	v_addc_co_u32_e32 v21, vcc, v3, v21, vcc
	global_load_dword v3, v[20:21], off
	s_waitcnt vmcnt(0)
	v_subrev_u32_e32 v5, s7, v3
	v_sub_u32_e32 v3, v5, v6
	v_cmp_gt_u32_e32 vcc, 32, v3
	v_cmp_lt_u32_e64 s[0:1], 31, v3
	s_and_saveexec_b64 s[20:21], s[0:1]
	s_xor_b64 s[0:1], exec, s[20:21]
	s_cbranch_execnz .LBB1_26
; %bb.24:                               ;   in Loop: Header=BB1_23 Depth=2
	s_andn2_saveexec_b64 s[0:1], s[0:1]
	s_cbranch_execnz .LBB1_27
.LBB1_25:                               ;   in Loop: Header=BB1_23 Depth=2
	s_or_b64 exec, exec, s[0:1]
	s_mov_b64 s[0:1], -1
	s_and_saveexec_b64 s[20:21], vcc
	s_cbranch_execz .LBB1_22
	s_branch .LBB1_28
.LBB1_26:                               ;   in Loop: Header=BB1_23 Depth=2
	v_min_i32_e32 v8, v5, v8
                                        ; implicit-def: $vgpr3
	s_andn2_saveexec_b64 s[0:1], s[0:1]
	s_cbranch_execz .LBB1_25
.LBB1_27:                               ;   in Loop: Header=BB1_23 Depth=2
	v_add_u32_e32 v3, v9, v3
	ds_write_b8 v3, v19
	s_or_b64 exec, exec, s[0:1]
	s_mov_b64 s[0:1], -1
	s_and_saveexec_b64 s[20:21], vcc
	s_cbranch_execz .LBB1_22
.LBB1_28:                               ;   in Loop: Header=BB1_23 Depth=2
	v_add_u32_e32 v4, 32, v4
	v_cmp_ge_i32_e32 vcc, v4, v12
	s_orn2_b64 s[0:1], vcc, exec
	s_branch .LBB1_22
.LBB1_29:
	s_or_b64 exec, exec, s[12:13]
	v_cmp_eq_u32_e32 vcc, 31, v0
	s_and_b64 exec, exec, vcc
	s_cbranch_execz .LBB1_31
; %bb.30:
	v_lshlrev_b32_e32 v0, 3, v1
	global_store_dwordx2 v0, v[7:8], s[4:5]
.LBB1_31:
	s_endpgm
	.section	.rodata,"a",@progbits
	.p2align	6, 0x0
	.amdhsa_kernel _ZN9rocsparseL28csrgeam_nnz_multipass_deviceILj256ELj32EiilEEvllPKT1_PKT2_S3_S6_PT3_21rocsparse_index_base_S9_
		.amdhsa_group_segment_fixed_size 256
		.amdhsa_private_segment_fixed_size 0
		.amdhsa_kernarg_size 64
		.amdhsa_user_sgpr_count 6
		.amdhsa_user_sgpr_private_segment_buffer 1
		.amdhsa_user_sgpr_dispatch_ptr 0
		.amdhsa_user_sgpr_queue_ptr 0
		.amdhsa_user_sgpr_kernarg_segment_ptr 1
		.amdhsa_user_sgpr_dispatch_id 0
		.amdhsa_user_sgpr_flat_scratch_init 0
		.amdhsa_user_sgpr_private_segment_size 0
		.amdhsa_uses_dynamic_stack 0
		.amdhsa_system_sgpr_private_segment_wavefront_offset 0
		.amdhsa_system_sgpr_workgroup_id_x 1
		.amdhsa_system_sgpr_workgroup_id_y 0
		.amdhsa_system_sgpr_workgroup_id_z 0
		.amdhsa_system_sgpr_workgroup_info 0
		.amdhsa_system_vgpr_workitem_id 0
		.amdhsa_next_free_vgpr 22
		.amdhsa_next_free_sgpr 22
		.amdhsa_reserve_vcc 1
		.amdhsa_reserve_flat_scratch 0
		.amdhsa_float_round_mode_32 0
		.amdhsa_float_round_mode_16_64 0
		.amdhsa_float_denorm_mode_32 3
		.amdhsa_float_denorm_mode_16_64 3
		.amdhsa_dx10_clamp 1
		.amdhsa_ieee_mode 1
		.amdhsa_fp16_overflow 0
		.amdhsa_exception_fp_ieee_invalid_op 0
		.amdhsa_exception_fp_denorm_src 0
		.amdhsa_exception_fp_ieee_div_zero 0
		.amdhsa_exception_fp_ieee_overflow 0
		.amdhsa_exception_fp_ieee_underflow 0
		.amdhsa_exception_fp_ieee_inexact 0
		.amdhsa_exception_int_div_zero 0
	.end_amdhsa_kernel
	.section	.text._ZN9rocsparseL28csrgeam_nnz_multipass_deviceILj256ELj32EiilEEvllPKT1_PKT2_S3_S6_PT3_21rocsparse_index_base_S9_,"axG",@progbits,_ZN9rocsparseL28csrgeam_nnz_multipass_deviceILj256ELj32EiilEEvllPKT1_PKT2_S3_S6_PT3_21rocsparse_index_base_S9_,comdat
.Lfunc_end1:
	.size	_ZN9rocsparseL28csrgeam_nnz_multipass_deviceILj256ELj32EiilEEvllPKT1_PKT2_S3_S6_PT3_21rocsparse_index_base_S9_, .Lfunc_end1-_ZN9rocsparseL28csrgeam_nnz_multipass_deviceILj256ELj32EiilEEvllPKT1_PKT2_S3_S6_PT3_21rocsparse_index_base_S9_
                                        ; -- End function
	.set _ZN9rocsparseL28csrgeam_nnz_multipass_deviceILj256ELj32EiilEEvllPKT1_PKT2_S3_S6_PT3_21rocsparse_index_base_S9_.num_vgpr, 22
	.set _ZN9rocsparseL28csrgeam_nnz_multipass_deviceILj256ELj32EiilEEvllPKT1_PKT2_S3_S6_PT3_21rocsparse_index_base_S9_.num_agpr, 0
	.set _ZN9rocsparseL28csrgeam_nnz_multipass_deviceILj256ELj32EiilEEvllPKT1_PKT2_S3_S6_PT3_21rocsparse_index_base_S9_.numbered_sgpr, 22
	.set _ZN9rocsparseL28csrgeam_nnz_multipass_deviceILj256ELj32EiilEEvllPKT1_PKT2_S3_S6_PT3_21rocsparse_index_base_S9_.num_named_barrier, 0
	.set _ZN9rocsparseL28csrgeam_nnz_multipass_deviceILj256ELj32EiilEEvllPKT1_PKT2_S3_S6_PT3_21rocsparse_index_base_S9_.private_seg_size, 0
	.set _ZN9rocsparseL28csrgeam_nnz_multipass_deviceILj256ELj32EiilEEvllPKT1_PKT2_S3_S6_PT3_21rocsparse_index_base_S9_.uses_vcc, 1
	.set _ZN9rocsparseL28csrgeam_nnz_multipass_deviceILj256ELj32EiilEEvllPKT1_PKT2_S3_S6_PT3_21rocsparse_index_base_S9_.uses_flat_scratch, 0
	.set _ZN9rocsparseL28csrgeam_nnz_multipass_deviceILj256ELj32EiilEEvllPKT1_PKT2_S3_S6_PT3_21rocsparse_index_base_S9_.has_dyn_sized_stack, 0
	.set _ZN9rocsparseL28csrgeam_nnz_multipass_deviceILj256ELj32EiilEEvllPKT1_PKT2_S3_S6_PT3_21rocsparse_index_base_S9_.has_recursion, 0
	.set _ZN9rocsparseL28csrgeam_nnz_multipass_deviceILj256ELj32EiilEEvllPKT1_PKT2_S3_S6_PT3_21rocsparse_index_base_S9_.has_indirect_call, 0
	.section	.AMDGPU.csdata,"",@progbits
; Kernel info:
; codeLenInByte = 1032
; TotalNumSgprs: 26
; NumVgprs: 22
; ScratchSize: 0
; MemoryBound: 0
; FloatMode: 240
; IeeeMode: 1
; LDSByteSize: 256 bytes/workgroup (compile time only)
; SGPRBlocks: 3
; VGPRBlocks: 5
; NumSGPRsForWavesPerEU: 26
; NumVGPRsForWavesPerEU: 22
; Occupancy: 10
; WaveLimiterHint : 1
; COMPUTE_PGM_RSRC2:SCRATCH_EN: 0
; COMPUTE_PGM_RSRC2:USER_SGPR: 6
; COMPUTE_PGM_RSRC2:TRAP_HANDLER: 0
; COMPUTE_PGM_RSRC2:TGID_X_EN: 1
; COMPUTE_PGM_RSRC2:TGID_Y_EN: 0
; COMPUTE_PGM_RSRC2:TGID_Z_EN: 0
; COMPUTE_PGM_RSRC2:TIDIG_COMP_CNT: 0
	.section	.text._ZN9rocsparseL28csrgeam_nnz_multipass_deviceILj256ELj64EiiiEEvllPKT1_PKT2_S3_S6_PT3_21rocsparse_index_base_S9_,"axG",@progbits,_ZN9rocsparseL28csrgeam_nnz_multipass_deviceILj256ELj64EiiiEEvllPKT1_PKT2_S3_S6_PT3_21rocsparse_index_base_S9_,comdat
	.globl	_ZN9rocsparseL28csrgeam_nnz_multipass_deviceILj256ELj64EiiiEEvllPKT1_PKT2_S3_S6_PT3_21rocsparse_index_base_S9_ ; -- Begin function _ZN9rocsparseL28csrgeam_nnz_multipass_deviceILj256ELj64EiiiEEvllPKT1_PKT2_S3_S6_PT3_21rocsparse_index_base_S9_
	.p2align	8
	.type	_ZN9rocsparseL28csrgeam_nnz_multipass_deviceILj256ELj64EiiiEEvllPKT1_PKT2_S3_S6_PT3_21rocsparse_index_base_S9_,@function
_ZN9rocsparseL28csrgeam_nnz_multipass_deviceILj256ELj64EiiiEEvllPKT1_PKT2_S3_S6_PT3_21rocsparse_index_base_S9_: ; @_ZN9rocsparseL28csrgeam_nnz_multipass_deviceILj256ELj64EiiiEEvllPKT1_PKT2_S3_S6_PT3_21rocsparse_index_base_S9_
; %bb.0:
	s_load_dwordx4 s[0:3], s[4:5], 0x0
	s_lshl_b32 s6, s6, 2
	v_lshrrev_b32_e32 v1, 6, v0
	s_and_b32 s6, s6, 0x3fffffc
	v_or_b32_e32 v1, s6, v1
	v_mov_b32_e32 v2, 0
	s_waitcnt lgkmcnt(0)
	v_cmp_gt_i64_e32 vcc, s[0:1], v[1:2]
	s_and_saveexec_b64 s[0:1], vcc
	s_cbranch_execz .LBB2_31
; %bb.1:
	s_load_dwordx4 s[8:11], s[4:5], 0x10
	s_load_dwordx2 s[0:1], s[4:5], 0x20
	v_lshlrev_b32_e32 v8, 2, v1
	s_load_dwordx2 s[6:7], s[4:5], 0x38
	s_waitcnt lgkmcnt(0)
	global_load_dwordx2 v[3:4], v8, s[8:9]
	global_load_dwordx2 v[1:2], v8, s[0:1]
	s_waitcnt vmcnt(1)
	v_cmp_ge_i32_e32 vcc, v3, v4
	s_and_saveexec_b64 s[0:1], vcc
	s_xor_b64 s[0:1], exec, s[0:1]
	s_or_saveexec_b64 s[0:1], s[0:1]
	v_subrev_u32_e32 v5, s6, v3
	v_mov_b32_e32 v3, s2
	s_xor_b64 exec, exec, s[0:1]
	s_cbranch_execz .LBB2_3
; %bb.2:
	v_ashrrev_i32_e32 v6, 31, v5
	v_lshlrev_b64 v[6:7], 2, v[5:6]
	v_mov_b32_e32 v3, s11
	v_add_co_u32_e32 v6, vcc, s10, v6
	v_addc_co_u32_e32 v7, vcc, v3, v7, vcc
	global_load_dword v3, v[6:7], off
	s_waitcnt vmcnt(0)
	v_subrev_u32_e32 v3, s6, v3
.LBB2_3:
	s_or_b64 exec, exec, s[0:1]
	s_load_dwordx2 s[8:9], s[4:5], 0x28
	s_waitcnt vmcnt(0)
	v_cmp_ge_i32_e32 vcc, v1, v2
	v_mov_b32_e32 v9, s2
	s_and_saveexec_b64 s[0:1], vcc
	s_xor_b64 s[0:1], exec, s[0:1]
; %bb.4:
	v_mov_b32_e32 v9, s2
; %bb.5:
	s_or_saveexec_b64 s[0:1], s[0:1]
	s_load_dwordx2 s[4:5], s[4:5], 0x30
	v_subrev_u32_e32 v6, s7, v1
	v_mov_b32_e32 v1, v9
	s_xor_b64 exec, exec, s[0:1]
	s_cbranch_execz .LBB2_7
; %bb.6:
	v_ashrrev_i32_e32 v7, 31, v6
	v_lshlrev_b64 v[10:11], 2, v[6:7]
	s_waitcnt lgkmcnt(0)
	v_mov_b32_e32 v1, s9
	v_add_co_u32_e32 v10, vcc, s8, v10
	v_addc_co_u32_e32 v11, vcc, v1, v11, vcc
	global_load_dword v1, v[10:11], off
	s_waitcnt vmcnt(0)
	v_subrev_u32_e32 v1, s7, v1
.LBB2_7:
	s_or_b64 exec, exec, s[0:1]
	v_subrev_u32_e32 v11, s6, v4
	v_min_i32_e32 v4, v1, v3
	v_mbcnt_lo_u32_b32 v1, -1, 0
	v_mbcnt_hi_u32_b32 v1, -1, v1
	v_and_b32_e32 v10, 63, v0
	v_and_b32_e32 v3, 64, v1
	v_and_b32_e32 v7, 0xc0, v0
	v_add_u32_e32 v0, v5, v10
	v_add_u32_e32 v3, 64, v3
	v_xor_b32_e32 v5, 32, v1
	v_cmp_lt_i32_e32 vcc, v5, v3
	v_cndmask_b32_e32 v5, v1, v5, vcc
	v_subrev_u32_e32 v12, s7, v2
	v_add_u32_e32 v2, v6, v10
	v_lshlrev_b32_e32 v6, 2, v5
	v_xor_b32_e32 v5, 16, v1
	v_cmp_lt_i32_e32 vcc, v5, v3
	v_cndmask_b32_e32 v5, v1, v5, vcc
	v_lshlrev_b32_e32 v13, 2, v5
	v_xor_b32_e32 v5, 8, v1
	v_cmp_lt_i32_e32 vcc, v5, v3
	v_cndmask_b32_e32 v5, v1, v5, vcc
	;; [unrolled: 4-line block ×5, first 2 shown]
	s_mov_b32 s20, 0
	v_lshlrev_b32_e32 v17, 2, v1
	s_mov_b64 s[12:13], 0
	v_mov_b32_e32 v18, 0
	v_mov_b32_e32 v19, 1
	s_branch .LBB2_10
.LBB2_8:                                ;   in Loop: Header=BB2_10 Depth=1
	s_or_b64 exec, exec, s[16:17]
.LBB2_9:                                ;   in Loop: Header=BB2_10 Depth=1
	s_or_b64 exec, exec, s[14:15]
	ds_bpermute_b32 v1, v6, v20
	s_waitcnt lgkmcnt(0)
	ds_read_u8 v4, v5
	v_min_i32_e32 v1, v1, v20
	ds_bpermute_b32 v3, v13, v1
	s_waitcnt lgkmcnt(1)
	v_cmp_ne_u16_e32 vcc, 0, v4
	s_bcnt1_i32_b64 s0, vcc
	s_add_i32 s20, s20, s0
	s_waitcnt lgkmcnt(0)
	v_min_i32_e32 v1, v3, v1
	ds_bpermute_b32 v3, v14, v1
	s_waitcnt lgkmcnt(0)
	v_min_i32_e32 v1, v3, v1
	ds_bpermute_b32 v3, v15, v1
	;; [unrolled: 3-line block ×4, first 2 shown]
	s_waitcnt lgkmcnt(0)
	v_min_i32_e32 v4, v3, v1
	v_ashrrev_i32_e32 v5, 31, v4
	v_cmp_le_i64_e32 vcc, s[2:3], v[4:5]
	v_mov_b32_e32 v1, s20
	s_or_b64 s[12:13], vcc, s[12:13]
	s_andn2_b64 exec, exec, s[12:13]
	s_cbranch_execz .LBB2_29
.LBB2_10:                               ; =>This Loop Header: Depth=1
                                        ;     Child Loop BB2_13 Depth 2
                                        ;     Child Loop BB2_23 Depth 2
	v_add_u32_e32 v5, v7, v10
	v_cmp_lt_i32_e32 vcc, v0, v11
	v_mov_b32_e32 v20, v9
	ds_write_b8 v5, v18
	s_waitcnt lgkmcnt(0)
	s_and_saveexec_b64 s[14:15], vcc
	s_cbranch_execz .LBB2_20
; %bb.11:                               ;   in Loop: Header=BB2_10 Depth=1
	s_mov_b64 s[16:17], 0
	v_mov_b32_e32 v20, v9
	s_branch .LBB2_13
.LBB2_12:                               ;   in Loop: Header=BB2_13 Depth=2
	s_or_b64 exec, exec, s[18:19]
	s_and_b64 s[0:1], exec, s[0:1]
	s_or_b64 s[16:17], s[0:1], s[16:17]
	s_andn2_b64 exec, exec, s[16:17]
	s_cbranch_execz .LBB2_19
.LBB2_13:                               ;   Parent Loop BB2_10 Depth=1
                                        ; =>  This Inner Loop Header: Depth=2
	v_ashrrev_i32_e32 v1, 31, v0
	v_lshlrev_b64 v[21:22], 2, v[0:1]
	v_mov_b32_e32 v1, s11
	v_add_co_u32_e32 v21, vcc, s10, v21
	v_addc_co_u32_e32 v22, vcc, v1, v22, vcc
	global_load_dword v1, v[21:22], off
	s_waitcnt vmcnt(0)
	v_subrev_u32_e32 v3, s6, v1
	v_sub_u32_e32 v1, v3, v4
	v_cmp_gt_u32_e32 vcc, 64, v1
	v_cmp_lt_u32_e64 s[0:1], 63, v1
	s_and_saveexec_b64 s[18:19], s[0:1]
	s_xor_b64 s[0:1], exec, s[18:19]
	s_cbranch_execnz .LBB2_16
; %bb.14:                               ;   in Loop: Header=BB2_13 Depth=2
	s_andn2_saveexec_b64 s[0:1], s[0:1]
	s_cbranch_execnz .LBB2_17
.LBB2_15:                               ;   in Loop: Header=BB2_13 Depth=2
	s_or_b64 exec, exec, s[0:1]
	s_mov_b64 s[0:1], -1
	s_and_saveexec_b64 s[18:19], vcc
	s_cbranch_execz .LBB2_12
	s_branch .LBB2_18
.LBB2_16:                               ;   in Loop: Header=BB2_13 Depth=2
	v_min_i32_e32 v20, v3, v20
                                        ; implicit-def: $vgpr1
	s_andn2_saveexec_b64 s[0:1], s[0:1]
	s_cbranch_execz .LBB2_15
.LBB2_17:                               ;   in Loop: Header=BB2_13 Depth=2
	v_add_u32_e32 v1, v7, v1
	ds_write_b8 v1, v19
	s_or_b64 exec, exec, s[0:1]
	s_mov_b64 s[0:1], -1
	s_and_saveexec_b64 s[18:19], vcc
	s_cbranch_execz .LBB2_12
.LBB2_18:                               ;   in Loop: Header=BB2_13 Depth=2
	v_add_u32_e32 v0, 64, v0
	v_cmp_ge_i32_e32 vcc, v0, v11
	s_orn2_b64 s[0:1], vcc, exec
	s_branch .LBB2_12
.LBB2_19:                               ;   in Loop: Header=BB2_10 Depth=1
	s_or_b64 exec, exec, s[16:17]
.LBB2_20:                               ;   in Loop: Header=BB2_10 Depth=1
	s_or_b64 exec, exec, s[14:15]
	v_cmp_lt_i32_e32 vcc, v2, v12
	s_and_saveexec_b64 s[14:15], vcc
	s_cbranch_execz .LBB2_9
; %bb.21:                               ;   in Loop: Header=BB2_10 Depth=1
	s_mov_b64 s[16:17], 0
	s_branch .LBB2_23
.LBB2_22:                               ;   in Loop: Header=BB2_23 Depth=2
	s_or_b64 exec, exec, s[18:19]
	s_and_b64 s[0:1], exec, s[0:1]
	s_or_b64 s[16:17], s[0:1], s[16:17]
	s_andn2_b64 exec, exec, s[16:17]
	s_cbranch_execz .LBB2_8
.LBB2_23:                               ;   Parent Loop BB2_10 Depth=1
                                        ; =>  This Inner Loop Header: Depth=2
	v_ashrrev_i32_e32 v3, 31, v2
	v_lshlrev_b64 v[21:22], 2, v[2:3]
	v_mov_b32_e32 v1, s9
	v_add_co_u32_e32 v21, vcc, s8, v21
	v_addc_co_u32_e32 v22, vcc, v1, v22, vcc
	global_load_dword v1, v[21:22], off
	s_waitcnt vmcnt(0)
	v_subrev_u32_e32 v3, s7, v1
	v_sub_u32_e32 v1, v3, v4
	v_cmp_gt_u32_e32 vcc, 64, v1
	v_cmp_lt_u32_e64 s[0:1], 63, v1
	s_and_saveexec_b64 s[18:19], s[0:1]
	s_xor_b64 s[0:1], exec, s[18:19]
	s_cbranch_execnz .LBB2_26
; %bb.24:                               ;   in Loop: Header=BB2_23 Depth=2
	s_andn2_saveexec_b64 s[0:1], s[0:1]
	s_cbranch_execnz .LBB2_27
.LBB2_25:                               ;   in Loop: Header=BB2_23 Depth=2
	s_or_b64 exec, exec, s[0:1]
	s_mov_b64 s[0:1], -1
	s_and_saveexec_b64 s[18:19], vcc
	s_cbranch_execz .LBB2_22
	s_branch .LBB2_28
.LBB2_26:                               ;   in Loop: Header=BB2_23 Depth=2
	v_min_i32_e32 v20, v3, v20
                                        ; implicit-def: $vgpr1
	s_andn2_saveexec_b64 s[0:1], s[0:1]
	s_cbranch_execz .LBB2_25
.LBB2_27:                               ;   in Loop: Header=BB2_23 Depth=2
	v_add_u32_e32 v1, v7, v1
	ds_write_b8 v1, v19
	s_or_b64 exec, exec, s[0:1]
	s_mov_b64 s[0:1], -1
	s_and_saveexec_b64 s[18:19], vcc
	s_cbranch_execz .LBB2_22
.LBB2_28:                               ;   in Loop: Header=BB2_23 Depth=2
	v_add_u32_e32 v2, 64, v2
	v_cmp_ge_i32_e32 vcc, v2, v12
	s_orn2_b64 s[0:1], vcc, exec
	s_branch .LBB2_22
.LBB2_29:
	s_or_b64 exec, exec, s[12:13]
	v_cmp_eq_u32_e32 vcc, 63, v10
	s_and_b64 exec, exec, vcc
	s_cbranch_execz .LBB2_31
; %bb.30:
	global_store_dword v8, v1, s[4:5]
.LBB2_31:
	s_endpgm
	.section	.rodata,"a",@progbits
	.p2align	6, 0x0
	.amdhsa_kernel _ZN9rocsparseL28csrgeam_nnz_multipass_deviceILj256ELj64EiiiEEvllPKT1_PKT2_S3_S6_PT3_21rocsparse_index_base_S9_
		.amdhsa_group_segment_fixed_size 256
		.amdhsa_private_segment_fixed_size 0
		.amdhsa_kernarg_size 64
		.amdhsa_user_sgpr_count 6
		.amdhsa_user_sgpr_private_segment_buffer 1
		.amdhsa_user_sgpr_dispatch_ptr 0
		.amdhsa_user_sgpr_queue_ptr 0
		.amdhsa_user_sgpr_kernarg_segment_ptr 1
		.amdhsa_user_sgpr_dispatch_id 0
		.amdhsa_user_sgpr_flat_scratch_init 0
		.amdhsa_user_sgpr_private_segment_size 0
		.amdhsa_uses_dynamic_stack 0
		.amdhsa_system_sgpr_private_segment_wavefront_offset 0
		.amdhsa_system_sgpr_workgroup_id_x 1
		.amdhsa_system_sgpr_workgroup_id_y 0
		.amdhsa_system_sgpr_workgroup_id_z 0
		.amdhsa_system_sgpr_workgroup_info 0
		.amdhsa_system_vgpr_workitem_id 0
		.amdhsa_next_free_vgpr 23
		.amdhsa_next_free_sgpr 21
		.amdhsa_reserve_vcc 1
		.amdhsa_reserve_flat_scratch 0
		.amdhsa_float_round_mode_32 0
		.amdhsa_float_round_mode_16_64 0
		.amdhsa_float_denorm_mode_32 3
		.amdhsa_float_denorm_mode_16_64 3
		.amdhsa_dx10_clamp 1
		.amdhsa_ieee_mode 1
		.amdhsa_fp16_overflow 0
		.amdhsa_exception_fp_ieee_invalid_op 0
		.amdhsa_exception_fp_denorm_src 0
		.amdhsa_exception_fp_ieee_div_zero 0
		.amdhsa_exception_fp_ieee_overflow 0
		.amdhsa_exception_fp_ieee_underflow 0
		.amdhsa_exception_fp_ieee_inexact 0
		.amdhsa_exception_int_div_zero 0
	.end_amdhsa_kernel
	.section	.text._ZN9rocsparseL28csrgeam_nnz_multipass_deviceILj256ELj64EiiiEEvllPKT1_PKT2_S3_S6_PT3_21rocsparse_index_base_S9_,"axG",@progbits,_ZN9rocsparseL28csrgeam_nnz_multipass_deviceILj256ELj64EiiiEEvllPKT1_PKT2_S3_S6_PT3_21rocsparse_index_base_S9_,comdat
.Lfunc_end2:
	.size	_ZN9rocsparseL28csrgeam_nnz_multipass_deviceILj256ELj64EiiiEEvllPKT1_PKT2_S3_S6_PT3_21rocsparse_index_base_S9_, .Lfunc_end2-_ZN9rocsparseL28csrgeam_nnz_multipass_deviceILj256ELj64EiiiEEvllPKT1_PKT2_S3_S6_PT3_21rocsparse_index_base_S9_
                                        ; -- End function
	.set _ZN9rocsparseL28csrgeam_nnz_multipass_deviceILj256ELj64EiiiEEvllPKT1_PKT2_S3_S6_PT3_21rocsparse_index_base_S9_.num_vgpr, 23
	.set _ZN9rocsparseL28csrgeam_nnz_multipass_deviceILj256ELj64EiiiEEvllPKT1_PKT2_S3_S6_PT3_21rocsparse_index_base_S9_.num_agpr, 0
	.set _ZN9rocsparseL28csrgeam_nnz_multipass_deviceILj256ELj64EiiiEEvllPKT1_PKT2_S3_S6_PT3_21rocsparse_index_base_S9_.numbered_sgpr, 21
	.set _ZN9rocsparseL28csrgeam_nnz_multipass_deviceILj256ELj64EiiiEEvllPKT1_PKT2_S3_S6_PT3_21rocsparse_index_base_S9_.num_named_barrier, 0
	.set _ZN9rocsparseL28csrgeam_nnz_multipass_deviceILj256ELj64EiiiEEvllPKT1_PKT2_S3_S6_PT3_21rocsparse_index_base_S9_.private_seg_size, 0
	.set _ZN9rocsparseL28csrgeam_nnz_multipass_deviceILj256ELj64EiiiEEvllPKT1_PKT2_S3_S6_PT3_21rocsparse_index_base_S9_.uses_vcc, 1
	.set _ZN9rocsparseL28csrgeam_nnz_multipass_deviceILj256ELj64EiiiEEvllPKT1_PKT2_S3_S6_PT3_21rocsparse_index_base_S9_.uses_flat_scratch, 0
	.set _ZN9rocsparseL28csrgeam_nnz_multipass_deviceILj256ELj64EiiiEEvllPKT1_PKT2_S3_S6_PT3_21rocsparse_index_base_S9_.has_dyn_sized_stack, 0
	.set _ZN9rocsparseL28csrgeam_nnz_multipass_deviceILj256ELj64EiiiEEvllPKT1_PKT2_S3_S6_PT3_21rocsparse_index_base_S9_.has_recursion, 0
	.set _ZN9rocsparseL28csrgeam_nnz_multipass_deviceILj256ELj64EiiiEEvllPKT1_PKT2_S3_S6_PT3_21rocsparse_index_base_S9_.has_indirect_call, 0
	.section	.AMDGPU.csdata,"",@progbits
; Kernel info:
; codeLenInByte = 1052
; TotalNumSgprs: 25
; NumVgprs: 23
; ScratchSize: 0
; MemoryBound: 0
; FloatMode: 240
; IeeeMode: 1
; LDSByteSize: 256 bytes/workgroup (compile time only)
; SGPRBlocks: 3
; VGPRBlocks: 5
; NumSGPRsForWavesPerEU: 25
; NumVGPRsForWavesPerEU: 23
; Occupancy: 10
; WaveLimiterHint : 1
; COMPUTE_PGM_RSRC2:SCRATCH_EN: 0
; COMPUTE_PGM_RSRC2:USER_SGPR: 6
; COMPUTE_PGM_RSRC2:TRAP_HANDLER: 0
; COMPUTE_PGM_RSRC2:TGID_X_EN: 1
; COMPUTE_PGM_RSRC2:TGID_Y_EN: 0
; COMPUTE_PGM_RSRC2:TGID_Z_EN: 0
; COMPUTE_PGM_RSRC2:TIDIG_COMP_CNT: 0
	.section	.text._ZN9rocsparseL28csrgeam_nnz_multipass_deviceILj256ELj64EiilEEvllPKT1_PKT2_S3_S6_PT3_21rocsparse_index_base_S9_,"axG",@progbits,_ZN9rocsparseL28csrgeam_nnz_multipass_deviceILj256ELj64EiilEEvllPKT1_PKT2_S3_S6_PT3_21rocsparse_index_base_S9_,comdat
	.globl	_ZN9rocsparseL28csrgeam_nnz_multipass_deviceILj256ELj64EiilEEvllPKT1_PKT2_S3_S6_PT3_21rocsparse_index_base_S9_ ; -- Begin function _ZN9rocsparseL28csrgeam_nnz_multipass_deviceILj256ELj64EiilEEvllPKT1_PKT2_S3_S6_PT3_21rocsparse_index_base_S9_
	.p2align	8
	.type	_ZN9rocsparseL28csrgeam_nnz_multipass_deviceILj256ELj64EiilEEvllPKT1_PKT2_S3_S6_PT3_21rocsparse_index_base_S9_,@function
_ZN9rocsparseL28csrgeam_nnz_multipass_deviceILj256ELj64EiilEEvllPKT1_PKT2_S3_S6_PT3_21rocsparse_index_base_S9_: ; @_ZN9rocsparseL28csrgeam_nnz_multipass_deviceILj256ELj64EiilEEvllPKT1_PKT2_S3_S6_PT3_21rocsparse_index_base_S9_
; %bb.0:
	s_load_dwordx4 s[0:3], s[4:5], 0x0
	s_lshl_b32 s6, s6, 2
	v_lshrrev_b32_e32 v1, 6, v0
	s_and_b32 s6, s6, 0x3fffffc
	v_or_b32_e32 v1, s6, v1
	v_mov_b32_e32 v2, 0
	s_waitcnt lgkmcnt(0)
	v_cmp_gt_i64_e32 vcc, s[0:1], v[1:2]
	s_and_saveexec_b64 s[0:1], vcc
	s_cbranch_execz .LBB3_31
; %bb.1:
	s_load_dwordx4 s[8:11], s[4:5], 0x10
	s_load_dwordx2 s[0:1], s[4:5], 0x20
	v_lshlrev_b32_e32 v6, 2, v1
	s_load_dwordx2 s[6:7], s[4:5], 0x38
	s_waitcnt lgkmcnt(0)
	global_load_dwordx2 v[4:5], v6, s[8:9]
	global_load_dwordx2 v[2:3], v6, s[0:1]
	s_waitcnt vmcnt(1)
	v_cmp_ge_i32_e32 vcc, v4, v5
	s_and_saveexec_b64 s[0:1], vcc
	s_xor_b64 s[0:1], exec, s[0:1]
	s_or_saveexec_b64 s[0:1], s[0:1]
	v_subrev_u32_e32 v7, s6, v4
	v_mov_b32_e32 v4, s2
	s_xor_b64 exec, exec, s[0:1]
	s_cbranch_execz .LBB3_3
; %bb.2:
	v_ashrrev_i32_e32 v8, 31, v7
	v_lshlrev_b64 v[8:9], 2, v[7:8]
	v_mov_b32_e32 v4, s11
	v_add_co_u32_e32 v8, vcc, s10, v8
	v_addc_co_u32_e32 v9, vcc, v4, v9, vcc
	global_load_dword v4, v[8:9], off
	s_waitcnt vmcnt(0)
	v_subrev_u32_e32 v4, s6, v4
.LBB3_3:
	s_or_b64 exec, exec, s[0:1]
	s_load_dwordx2 s[8:9], s[4:5], 0x28
	s_waitcnt vmcnt(0)
	v_cmp_ge_i32_e32 vcc, v2, v3
	v_mov_b32_e32 v10, s2
	s_and_saveexec_b64 s[0:1], vcc
	s_xor_b64 s[0:1], exec, s[0:1]
; %bb.4:
	v_mov_b32_e32 v10, s2
; %bb.5:
	s_or_saveexec_b64 s[0:1], s[0:1]
	s_load_dwordx2 s[4:5], s[4:5], 0x30
	v_subrev_u32_e32 v8, s7, v2
	v_mov_b32_e32 v2, v10
	s_xor_b64 exec, exec, s[0:1]
	s_cbranch_execz .LBB3_7
; %bb.6:
	v_ashrrev_i32_e32 v9, 31, v8
	v_lshlrev_b64 v[11:12], 2, v[8:9]
	s_waitcnt lgkmcnt(0)
	v_mov_b32_e32 v2, s9
	v_add_co_u32_e32 v11, vcc, s8, v11
	v_addc_co_u32_e32 v12, vcc, v2, v12, vcc
	global_load_dword v2, v[11:12], off
	s_waitcnt vmcnt(0)
	v_subrev_u32_e32 v2, s7, v2
.LBB3_7:
	s_or_b64 exec, exec, s[0:1]
	v_subrev_u32_e32 v12, s7, v3
	v_mbcnt_lo_u32_b32 v3, -1, 0
	v_mbcnt_hi_u32_b32 v3, -1, v3
	v_and_b32_e32 v9, 0xc0, v0
	v_subrev_u32_e32 v11, s6, v5
	v_and_b32_e32 v0, 63, v0
	v_and_b32_e32 v5, 64, v3
	v_min_i32_e32 v6, v2, v4
	v_add_u32_e32 v2, v7, v0
	v_add_u32_e32 v5, 64, v5
	v_xor_b32_e32 v7, 32, v3
	v_cmp_lt_i32_e32 vcc, v7, v5
	v_cndmask_b32_e32 v7, v3, v7, vcc
	v_lshlrev_b32_e32 v13, 2, v7
	v_xor_b32_e32 v7, 16, v3
	v_cmp_lt_i32_e32 vcc, v7, v5
	v_cndmask_b32_e32 v7, v3, v7, vcc
	v_lshlrev_b32_e32 v14, 2, v7
	;; [unrolled: 4-line block ×5, first 2 shown]
	v_xor_b32_e32 v7, 1, v3
	v_cmp_lt_i32_e32 vcc, v7, v5
	v_cndmask_b32_e32 v3, v3, v7, vcc
	v_add_u32_e32 v4, v8, v0
	v_lshlrev_b32_e32 v18, 2, v3
	s_mov_b64 s[12:13], 0
	v_mov_b32_e32 v19, 0
	v_mov_b32_e32 v20, 1
	s_mov_b64 s[14:15], 0
	s_branch .LBB3_10
.LBB3_8:                                ;   in Loop: Header=BB3_10 Depth=1
	s_or_b64 exec, exec, s[18:19]
.LBB3_9:                                ;   in Loop: Header=BB3_10 Depth=1
	s_or_b64 exec, exec, s[16:17]
	ds_bpermute_b32 v3, v13, v8
	s_waitcnt lgkmcnt(0)
	ds_read_u8 v6, v7
	v_min_i32_e32 v3, v3, v8
	ds_bpermute_b32 v5, v14, v3
	s_waitcnt lgkmcnt(1)
	v_cmp_ne_u16_e32 vcc, 0, v6
	s_bcnt1_i32_b64 s0, vcc
	s_add_u32 s14, s0, s14
	s_addc_u32 s15, 0, s15
	s_waitcnt lgkmcnt(0)
	v_min_i32_e32 v3, v5, v3
	ds_bpermute_b32 v5, v15, v3
	s_waitcnt lgkmcnt(0)
	v_min_i32_e32 v3, v5, v3
	ds_bpermute_b32 v5, v16, v3
	;; [unrolled: 3-line block ×4, first 2 shown]
	s_waitcnt lgkmcnt(0)
	v_min_i32_e32 v6, v5, v3
	v_ashrrev_i32_e32 v7, 31, v6
	v_cmp_le_i64_e32 vcc, s[2:3], v[6:7]
	v_mov_b32_e32 v7, s14
	s_or_b64 s[12:13], vcc, s[12:13]
	v_mov_b32_e32 v8, s15
	s_andn2_b64 exec, exec, s[12:13]
	s_cbranch_execz .LBB3_29
.LBB3_10:                               ; =>This Loop Header: Depth=1
                                        ;     Child Loop BB3_13 Depth 2
                                        ;     Child Loop BB3_23 Depth 2
	v_add_u32_e32 v7, v9, v0
	v_cmp_lt_i32_e32 vcc, v2, v11
	v_mov_b32_e32 v8, v10
	ds_write_b8 v7, v19
	s_waitcnt lgkmcnt(0)
	s_and_saveexec_b64 s[16:17], vcc
	s_cbranch_execz .LBB3_20
; %bb.11:                               ;   in Loop: Header=BB3_10 Depth=1
	s_mov_b64 s[18:19], 0
	v_mov_b32_e32 v8, v10
	s_branch .LBB3_13
.LBB3_12:                               ;   in Loop: Header=BB3_13 Depth=2
	s_or_b64 exec, exec, s[20:21]
	s_and_b64 s[0:1], exec, s[0:1]
	s_or_b64 s[18:19], s[0:1], s[18:19]
	s_andn2_b64 exec, exec, s[18:19]
	s_cbranch_execz .LBB3_19
.LBB3_13:                               ;   Parent Loop BB3_10 Depth=1
                                        ; =>  This Inner Loop Header: Depth=2
	v_ashrrev_i32_e32 v3, 31, v2
	v_lshlrev_b64 v[21:22], 2, v[2:3]
	v_mov_b32_e32 v3, s11
	v_add_co_u32_e32 v21, vcc, s10, v21
	v_addc_co_u32_e32 v22, vcc, v3, v22, vcc
	global_load_dword v3, v[21:22], off
	s_waitcnt vmcnt(0)
	v_subrev_u32_e32 v5, s6, v3
	v_sub_u32_e32 v3, v5, v6
	v_cmp_gt_u32_e32 vcc, 64, v3
	v_cmp_lt_u32_e64 s[0:1], 63, v3
	s_and_saveexec_b64 s[20:21], s[0:1]
	s_xor_b64 s[0:1], exec, s[20:21]
	s_cbranch_execnz .LBB3_16
; %bb.14:                               ;   in Loop: Header=BB3_13 Depth=2
	s_andn2_saveexec_b64 s[0:1], s[0:1]
	s_cbranch_execnz .LBB3_17
.LBB3_15:                               ;   in Loop: Header=BB3_13 Depth=2
	s_or_b64 exec, exec, s[0:1]
	s_mov_b64 s[0:1], -1
	s_and_saveexec_b64 s[20:21], vcc
	s_cbranch_execz .LBB3_12
	s_branch .LBB3_18
.LBB3_16:                               ;   in Loop: Header=BB3_13 Depth=2
	v_min_i32_e32 v8, v5, v8
                                        ; implicit-def: $vgpr3
	s_andn2_saveexec_b64 s[0:1], s[0:1]
	s_cbranch_execz .LBB3_15
.LBB3_17:                               ;   in Loop: Header=BB3_13 Depth=2
	v_add_u32_e32 v3, v9, v3
	ds_write_b8 v3, v20
	s_or_b64 exec, exec, s[0:1]
	s_mov_b64 s[0:1], -1
	s_and_saveexec_b64 s[20:21], vcc
	s_cbranch_execz .LBB3_12
.LBB3_18:                               ;   in Loop: Header=BB3_13 Depth=2
	v_add_u32_e32 v2, 64, v2
	v_cmp_ge_i32_e32 vcc, v2, v11
	s_orn2_b64 s[0:1], vcc, exec
	s_branch .LBB3_12
.LBB3_19:                               ;   in Loop: Header=BB3_10 Depth=1
	s_or_b64 exec, exec, s[18:19]
.LBB3_20:                               ;   in Loop: Header=BB3_10 Depth=1
	s_or_b64 exec, exec, s[16:17]
	v_cmp_lt_i32_e32 vcc, v4, v12
	s_and_saveexec_b64 s[16:17], vcc
	s_cbranch_execz .LBB3_9
; %bb.21:                               ;   in Loop: Header=BB3_10 Depth=1
	s_mov_b64 s[18:19], 0
	s_branch .LBB3_23
.LBB3_22:                               ;   in Loop: Header=BB3_23 Depth=2
	s_or_b64 exec, exec, s[20:21]
	s_and_b64 s[0:1], exec, s[0:1]
	s_or_b64 s[18:19], s[0:1], s[18:19]
	s_andn2_b64 exec, exec, s[18:19]
	s_cbranch_execz .LBB3_8
.LBB3_23:                               ;   Parent Loop BB3_10 Depth=1
                                        ; =>  This Inner Loop Header: Depth=2
	v_ashrrev_i32_e32 v5, 31, v4
	v_lshlrev_b64 v[21:22], 2, v[4:5]
	v_mov_b32_e32 v3, s9
	v_add_co_u32_e32 v21, vcc, s8, v21
	v_addc_co_u32_e32 v22, vcc, v3, v22, vcc
	global_load_dword v3, v[21:22], off
	s_waitcnt vmcnt(0)
	v_subrev_u32_e32 v5, s7, v3
	v_sub_u32_e32 v3, v5, v6
	v_cmp_gt_u32_e32 vcc, 64, v3
	v_cmp_lt_u32_e64 s[0:1], 63, v3
	s_and_saveexec_b64 s[20:21], s[0:1]
	s_xor_b64 s[0:1], exec, s[20:21]
	s_cbranch_execnz .LBB3_26
; %bb.24:                               ;   in Loop: Header=BB3_23 Depth=2
	s_andn2_saveexec_b64 s[0:1], s[0:1]
	s_cbranch_execnz .LBB3_27
.LBB3_25:                               ;   in Loop: Header=BB3_23 Depth=2
	s_or_b64 exec, exec, s[0:1]
	s_mov_b64 s[0:1], -1
	s_and_saveexec_b64 s[20:21], vcc
	s_cbranch_execz .LBB3_22
	s_branch .LBB3_28
.LBB3_26:                               ;   in Loop: Header=BB3_23 Depth=2
	v_min_i32_e32 v8, v5, v8
                                        ; implicit-def: $vgpr3
	s_andn2_saveexec_b64 s[0:1], s[0:1]
	s_cbranch_execz .LBB3_25
.LBB3_27:                               ;   in Loop: Header=BB3_23 Depth=2
	v_add_u32_e32 v3, v9, v3
	ds_write_b8 v3, v20
	s_or_b64 exec, exec, s[0:1]
	s_mov_b64 s[0:1], -1
	s_and_saveexec_b64 s[20:21], vcc
	s_cbranch_execz .LBB3_22
.LBB3_28:                               ;   in Loop: Header=BB3_23 Depth=2
	v_add_u32_e32 v4, 64, v4
	v_cmp_ge_i32_e32 vcc, v4, v12
	s_orn2_b64 s[0:1], vcc, exec
	s_branch .LBB3_22
.LBB3_29:
	s_or_b64 exec, exec, s[12:13]
	v_cmp_eq_u32_e32 vcc, 63, v0
	s_and_b64 exec, exec, vcc
	s_cbranch_execz .LBB3_31
; %bb.30:
	v_lshlrev_b32_e32 v0, 3, v1
	global_store_dwordx2 v0, v[7:8], s[4:5]
.LBB3_31:
	s_endpgm
	.section	.rodata,"a",@progbits
	.p2align	6, 0x0
	.amdhsa_kernel _ZN9rocsparseL28csrgeam_nnz_multipass_deviceILj256ELj64EiilEEvllPKT1_PKT2_S3_S6_PT3_21rocsparse_index_base_S9_
		.amdhsa_group_segment_fixed_size 256
		.amdhsa_private_segment_fixed_size 0
		.amdhsa_kernarg_size 64
		.amdhsa_user_sgpr_count 6
		.amdhsa_user_sgpr_private_segment_buffer 1
		.amdhsa_user_sgpr_dispatch_ptr 0
		.amdhsa_user_sgpr_queue_ptr 0
		.amdhsa_user_sgpr_kernarg_segment_ptr 1
		.amdhsa_user_sgpr_dispatch_id 0
		.amdhsa_user_sgpr_flat_scratch_init 0
		.amdhsa_user_sgpr_private_segment_size 0
		.amdhsa_uses_dynamic_stack 0
		.amdhsa_system_sgpr_private_segment_wavefront_offset 0
		.amdhsa_system_sgpr_workgroup_id_x 1
		.amdhsa_system_sgpr_workgroup_id_y 0
		.amdhsa_system_sgpr_workgroup_id_z 0
		.amdhsa_system_sgpr_workgroup_info 0
		.amdhsa_system_vgpr_workitem_id 0
		.amdhsa_next_free_vgpr 23
		.amdhsa_next_free_sgpr 22
		.amdhsa_reserve_vcc 1
		.amdhsa_reserve_flat_scratch 0
		.amdhsa_float_round_mode_32 0
		.amdhsa_float_round_mode_16_64 0
		.amdhsa_float_denorm_mode_32 3
		.amdhsa_float_denorm_mode_16_64 3
		.amdhsa_dx10_clamp 1
		.amdhsa_ieee_mode 1
		.amdhsa_fp16_overflow 0
		.amdhsa_exception_fp_ieee_invalid_op 0
		.amdhsa_exception_fp_denorm_src 0
		.amdhsa_exception_fp_ieee_div_zero 0
		.amdhsa_exception_fp_ieee_overflow 0
		.amdhsa_exception_fp_ieee_underflow 0
		.amdhsa_exception_fp_ieee_inexact 0
		.amdhsa_exception_int_div_zero 0
	.end_amdhsa_kernel
	.section	.text._ZN9rocsparseL28csrgeam_nnz_multipass_deviceILj256ELj64EiilEEvllPKT1_PKT2_S3_S6_PT3_21rocsparse_index_base_S9_,"axG",@progbits,_ZN9rocsparseL28csrgeam_nnz_multipass_deviceILj256ELj64EiilEEvllPKT1_PKT2_S3_S6_PT3_21rocsparse_index_base_S9_,comdat
.Lfunc_end3:
	.size	_ZN9rocsparseL28csrgeam_nnz_multipass_deviceILj256ELj64EiilEEvllPKT1_PKT2_S3_S6_PT3_21rocsparse_index_base_S9_, .Lfunc_end3-_ZN9rocsparseL28csrgeam_nnz_multipass_deviceILj256ELj64EiilEEvllPKT1_PKT2_S3_S6_PT3_21rocsparse_index_base_S9_
                                        ; -- End function
	.set _ZN9rocsparseL28csrgeam_nnz_multipass_deviceILj256ELj64EiilEEvllPKT1_PKT2_S3_S6_PT3_21rocsparse_index_base_S9_.num_vgpr, 23
	.set _ZN9rocsparseL28csrgeam_nnz_multipass_deviceILj256ELj64EiilEEvllPKT1_PKT2_S3_S6_PT3_21rocsparse_index_base_S9_.num_agpr, 0
	.set _ZN9rocsparseL28csrgeam_nnz_multipass_deviceILj256ELj64EiilEEvllPKT1_PKT2_S3_S6_PT3_21rocsparse_index_base_S9_.numbered_sgpr, 22
	.set _ZN9rocsparseL28csrgeam_nnz_multipass_deviceILj256ELj64EiilEEvllPKT1_PKT2_S3_S6_PT3_21rocsparse_index_base_S9_.num_named_barrier, 0
	.set _ZN9rocsparseL28csrgeam_nnz_multipass_deviceILj256ELj64EiilEEvllPKT1_PKT2_S3_S6_PT3_21rocsparse_index_base_S9_.private_seg_size, 0
	.set _ZN9rocsparseL28csrgeam_nnz_multipass_deviceILj256ELj64EiilEEvllPKT1_PKT2_S3_S6_PT3_21rocsparse_index_base_S9_.uses_vcc, 1
	.set _ZN9rocsparseL28csrgeam_nnz_multipass_deviceILj256ELj64EiilEEvllPKT1_PKT2_S3_S6_PT3_21rocsparse_index_base_S9_.uses_flat_scratch, 0
	.set _ZN9rocsparseL28csrgeam_nnz_multipass_deviceILj256ELj64EiilEEvllPKT1_PKT2_S3_S6_PT3_21rocsparse_index_base_S9_.has_dyn_sized_stack, 0
	.set _ZN9rocsparseL28csrgeam_nnz_multipass_deviceILj256ELj64EiilEEvllPKT1_PKT2_S3_S6_PT3_21rocsparse_index_base_S9_.has_recursion, 0
	.set _ZN9rocsparseL28csrgeam_nnz_multipass_deviceILj256ELj64EiilEEvllPKT1_PKT2_S3_S6_PT3_21rocsparse_index_base_S9_.has_indirect_call, 0
	.section	.AMDGPU.csdata,"",@progbits
; Kernel info:
; codeLenInByte = 1064
; TotalNumSgprs: 26
; NumVgprs: 23
; ScratchSize: 0
; MemoryBound: 0
; FloatMode: 240
; IeeeMode: 1
; LDSByteSize: 256 bytes/workgroup (compile time only)
; SGPRBlocks: 3
; VGPRBlocks: 5
; NumSGPRsForWavesPerEU: 26
; NumVGPRsForWavesPerEU: 23
; Occupancy: 10
; WaveLimiterHint : 1
; COMPUTE_PGM_RSRC2:SCRATCH_EN: 0
; COMPUTE_PGM_RSRC2:USER_SGPR: 6
; COMPUTE_PGM_RSRC2:TRAP_HANDLER: 0
; COMPUTE_PGM_RSRC2:TGID_X_EN: 1
; COMPUTE_PGM_RSRC2:TGID_Y_EN: 0
; COMPUTE_PGM_RSRC2:TGID_Z_EN: 0
; COMPUTE_PGM_RSRC2:TIDIG_COMP_CNT: 0
	.section	.text._ZN9rocsparseL21csrgeam_check_row_ptrILj256EilEEvT1_PT0_21rocsparse_index_base_,"axG",@progbits,_ZN9rocsparseL21csrgeam_check_row_ptrILj256EilEEvT1_PT0_21rocsparse_index_base_,comdat
	.globl	_ZN9rocsparseL21csrgeam_check_row_ptrILj256EilEEvT1_PT0_21rocsparse_index_base_ ; -- Begin function _ZN9rocsparseL21csrgeam_check_row_ptrILj256EilEEvT1_PT0_21rocsparse_index_base_
	.p2align	8
	.type	_ZN9rocsparseL21csrgeam_check_row_ptrILj256EilEEvT1_PT0_21rocsparse_index_base_,@function
_ZN9rocsparseL21csrgeam_check_row_ptrILj256EilEEvT1_PT0_21rocsparse_index_base_: ; @_ZN9rocsparseL21csrgeam_check_row_ptrILj256EilEEvT1_PT0_21rocsparse_index_base_
; %bb.0:
	s_load_dwordx2 s[0:1], s[4:5], 0x0
	v_lshl_or_b32 v0, s6, 8, v0
	v_mov_b32_e32 v1, 0
	s_waitcnt lgkmcnt(0)
	v_cmp_ge_i64_e32 vcc, s[0:1], v[0:1]
	s_and_saveexec_b64 s[2:3], vcc
	s_cbranch_execz .LBB4_3
; %bb.1:
	s_load_dwordx2 s[2:3], s[4:5], 0x8
	s_load_dword s6, s[4:5], 0x10
	v_lshlrev_b64 v[0:1], 2, v[0:1]
	s_waitcnt lgkmcnt(0)
	v_mov_b32_e32 v2, s3
	v_add_co_u32_e32 v0, vcc, s2, v0
	v_addc_co_u32_e32 v1, vcc, v2, v1, vcc
	global_load_dword v0, v[0:1], off
	s_waitcnt vmcnt(0)
	v_cmp_gt_i32_e32 vcc, s6, v0
	s_and_b64 exec, exec, vcc
	s_cbranch_execz .LBB4_3
; %bb.2:
	s_lshl_b64 s[0:1], s[0:1], 2
	s_add_u32 s0, s2, s0
	s_addc_u32 s1, s3, s1
	v_mov_b32_e32 v0, 0
	v_mov_b32_e32 v1, -1
	global_store_dword v0, v1, s[0:1]
.LBB4_3:
	s_endpgm
	.section	.rodata,"a",@progbits
	.p2align	6, 0x0
	.amdhsa_kernel _ZN9rocsparseL21csrgeam_check_row_ptrILj256EilEEvT1_PT0_21rocsparse_index_base_
		.amdhsa_group_segment_fixed_size 0
		.amdhsa_private_segment_fixed_size 0
		.amdhsa_kernarg_size 20
		.amdhsa_user_sgpr_count 6
		.amdhsa_user_sgpr_private_segment_buffer 1
		.amdhsa_user_sgpr_dispatch_ptr 0
		.amdhsa_user_sgpr_queue_ptr 0
		.amdhsa_user_sgpr_kernarg_segment_ptr 1
		.amdhsa_user_sgpr_dispatch_id 0
		.amdhsa_user_sgpr_flat_scratch_init 0
		.amdhsa_user_sgpr_private_segment_size 0
		.amdhsa_uses_dynamic_stack 0
		.amdhsa_system_sgpr_private_segment_wavefront_offset 0
		.amdhsa_system_sgpr_workgroup_id_x 1
		.amdhsa_system_sgpr_workgroup_id_y 0
		.amdhsa_system_sgpr_workgroup_id_z 0
		.amdhsa_system_sgpr_workgroup_info 0
		.amdhsa_system_vgpr_workitem_id 0
		.amdhsa_next_free_vgpr 3
		.amdhsa_next_free_sgpr 7
		.amdhsa_reserve_vcc 1
		.amdhsa_reserve_flat_scratch 0
		.amdhsa_float_round_mode_32 0
		.amdhsa_float_round_mode_16_64 0
		.amdhsa_float_denorm_mode_32 3
		.amdhsa_float_denorm_mode_16_64 3
		.amdhsa_dx10_clamp 1
		.amdhsa_ieee_mode 1
		.amdhsa_fp16_overflow 0
		.amdhsa_exception_fp_ieee_invalid_op 0
		.amdhsa_exception_fp_denorm_src 0
		.amdhsa_exception_fp_ieee_div_zero 0
		.amdhsa_exception_fp_ieee_overflow 0
		.amdhsa_exception_fp_ieee_underflow 0
		.amdhsa_exception_fp_ieee_inexact 0
		.amdhsa_exception_int_div_zero 0
	.end_amdhsa_kernel
	.section	.text._ZN9rocsparseL21csrgeam_check_row_ptrILj256EilEEvT1_PT0_21rocsparse_index_base_,"axG",@progbits,_ZN9rocsparseL21csrgeam_check_row_ptrILj256EilEEvT1_PT0_21rocsparse_index_base_,comdat
.Lfunc_end4:
	.size	_ZN9rocsparseL21csrgeam_check_row_ptrILj256EilEEvT1_PT0_21rocsparse_index_base_, .Lfunc_end4-_ZN9rocsparseL21csrgeam_check_row_ptrILj256EilEEvT1_PT0_21rocsparse_index_base_
                                        ; -- End function
	.set _ZN9rocsparseL21csrgeam_check_row_ptrILj256EilEEvT1_PT0_21rocsparse_index_base_.num_vgpr, 3
	.set _ZN9rocsparseL21csrgeam_check_row_ptrILj256EilEEvT1_PT0_21rocsparse_index_base_.num_agpr, 0
	.set _ZN9rocsparseL21csrgeam_check_row_ptrILj256EilEEvT1_PT0_21rocsparse_index_base_.numbered_sgpr, 7
	.set _ZN9rocsparseL21csrgeam_check_row_ptrILj256EilEEvT1_PT0_21rocsparse_index_base_.num_named_barrier, 0
	.set _ZN9rocsparseL21csrgeam_check_row_ptrILj256EilEEvT1_PT0_21rocsparse_index_base_.private_seg_size, 0
	.set _ZN9rocsparseL21csrgeam_check_row_ptrILj256EilEEvT1_PT0_21rocsparse_index_base_.uses_vcc, 1
	.set _ZN9rocsparseL21csrgeam_check_row_ptrILj256EilEEvT1_PT0_21rocsparse_index_base_.uses_flat_scratch, 0
	.set _ZN9rocsparseL21csrgeam_check_row_ptrILj256EilEEvT1_PT0_21rocsparse_index_base_.has_dyn_sized_stack, 0
	.set _ZN9rocsparseL21csrgeam_check_row_ptrILj256EilEEvT1_PT0_21rocsparse_index_base_.has_recursion, 0
	.set _ZN9rocsparseL21csrgeam_check_row_ptrILj256EilEEvT1_PT0_21rocsparse_index_base_.has_indirect_call, 0
	.section	.AMDGPU.csdata,"",@progbits
; Kernel info:
; codeLenInByte = 132
; TotalNumSgprs: 11
; NumVgprs: 3
; ScratchSize: 0
; MemoryBound: 0
; FloatMode: 240
; IeeeMode: 1
; LDSByteSize: 0 bytes/workgroup (compile time only)
; SGPRBlocks: 1
; VGPRBlocks: 0
; NumSGPRsForWavesPerEU: 11
; NumVGPRsForWavesPerEU: 3
; Occupancy: 10
; WaveLimiterHint : 0
; COMPUTE_PGM_RSRC2:SCRATCH_EN: 0
; COMPUTE_PGM_RSRC2:USER_SGPR: 6
; COMPUTE_PGM_RSRC2:TRAP_HANDLER: 0
; COMPUTE_PGM_RSRC2:TGID_X_EN: 1
; COMPUTE_PGM_RSRC2:TGID_Y_EN: 0
; COMPUTE_PGM_RSRC2:TGID_Z_EN: 0
; COMPUTE_PGM_RSRC2:TIDIG_COMP_CNT: 0
	.section	.text._ZN9rocsparseL18csrgeam_index_baseILj1EiEEvPT0_,"axG",@progbits,_ZN9rocsparseL18csrgeam_index_baseILj1EiEEvPT0_,comdat
	.globl	_ZN9rocsparseL18csrgeam_index_baseILj1EiEEvPT0_ ; -- Begin function _ZN9rocsparseL18csrgeam_index_baseILj1EiEEvPT0_
	.p2align	8
	.type	_ZN9rocsparseL18csrgeam_index_baseILj1EiEEvPT0_,@function
_ZN9rocsparseL18csrgeam_index_baseILj1EiEEvPT0_: ; @_ZN9rocsparseL18csrgeam_index_baseILj1EiEEvPT0_
; %bb.0:
	s_load_dwordx2 s[0:1], s[4:5], 0x0
	s_waitcnt lgkmcnt(0)
	s_load_dword s2, s[0:1], 0x0
	s_waitcnt lgkmcnt(0)
	s_cmp_eq_u32 s2, -1
	s_cbranch_scc1 .LBB5_2
; %bb.1:
	s_add_i32 s2, s2, -1
	v_mov_b32_e32 v0, 0
	v_mov_b32_e32 v1, s2
	global_store_dword v0, v1, s[0:1]
.LBB5_2:
	s_endpgm
	.section	.rodata,"a",@progbits
	.p2align	6, 0x0
	.amdhsa_kernel _ZN9rocsparseL18csrgeam_index_baseILj1EiEEvPT0_
		.amdhsa_group_segment_fixed_size 0
		.amdhsa_private_segment_fixed_size 0
		.amdhsa_kernarg_size 8
		.amdhsa_user_sgpr_count 6
		.amdhsa_user_sgpr_private_segment_buffer 1
		.amdhsa_user_sgpr_dispatch_ptr 0
		.amdhsa_user_sgpr_queue_ptr 0
		.amdhsa_user_sgpr_kernarg_segment_ptr 1
		.amdhsa_user_sgpr_dispatch_id 0
		.amdhsa_user_sgpr_flat_scratch_init 0
		.amdhsa_user_sgpr_private_segment_size 0
		.amdhsa_uses_dynamic_stack 0
		.amdhsa_system_sgpr_private_segment_wavefront_offset 0
		.amdhsa_system_sgpr_workgroup_id_x 1
		.amdhsa_system_sgpr_workgroup_id_y 0
		.amdhsa_system_sgpr_workgroup_id_z 0
		.amdhsa_system_sgpr_workgroup_info 0
		.amdhsa_system_vgpr_workitem_id 0
		.amdhsa_next_free_vgpr 2
		.amdhsa_next_free_sgpr 6
		.amdhsa_reserve_vcc 0
		.amdhsa_reserve_flat_scratch 0
		.amdhsa_float_round_mode_32 0
		.amdhsa_float_round_mode_16_64 0
		.amdhsa_float_denorm_mode_32 3
		.amdhsa_float_denorm_mode_16_64 3
		.amdhsa_dx10_clamp 1
		.amdhsa_ieee_mode 1
		.amdhsa_fp16_overflow 0
		.amdhsa_exception_fp_ieee_invalid_op 0
		.amdhsa_exception_fp_denorm_src 0
		.amdhsa_exception_fp_ieee_div_zero 0
		.amdhsa_exception_fp_ieee_overflow 0
		.amdhsa_exception_fp_ieee_underflow 0
		.amdhsa_exception_fp_ieee_inexact 0
		.amdhsa_exception_int_div_zero 0
	.end_amdhsa_kernel
	.section	.text._ZN9rocsparseL18csrgeam_index_baseILj1EiEEvPT0_,"axG",@progbits,_ZN9rocsparseL18csrgeam_index_baseILj1EiEEvPT0_,comdat
.Lfunc_end5:
	.size	_ZN9rocsparseL18csrgeam_index_baseILj1EiEEvPT0_, .Lfunc_end5-_ZN9rocsparseL18csrgeam_index_baseILj1EiEEvPT0_
                                        ; -- End function
	.set _ZN9rocsparseL18csrgeam_index_baseILj1EiEEvPT0_.num_vgpr, 2
	.set _ZN9rocsparseL18csrgeam_index_baseILj1EiEEvPT0_.num_agpr, 0
	.set _ZN9rocsparseL18csrgeam_index_baseILj1EiEEvPT0_.numbered_sgpr, 6
	.set _ZN9rocsparseL18csrgeam_index_baseILj1EiEEvPT0_.num_named_barrier, 0
	.set _ZN9rocsparseL18csrgeam_index_baseILj1EiEEvPT0_.private_seg_size, 0
	.set _ZN9rocsparseL18csrgeam_index_baseILj1EiEEvPT0_.uses_vcc, 0
	.set _ZN9rocsparseL18csrgeam_index_baseILj1EiEEvPT0_.uses_flat_scratch, 0
	.set _ZN9rocsparseL18csrgeam_index_baseILj1EiEEvPT0_.has_dyn_sized_stack, 0
	.set _ZN9rocsparseL18csrgeam_index_baseILj1EiEEvPT0_.has_recursion, 0
	.set _ZN9rocsparseL18csrgeam_index_baseILj1EiEEvPT0_.has_indirect_call, 0
	.section	.AMDGPU.csdata,"",@progbits
; Kernel info:
; codeLenInByte = 56
; TotalNumSgprs: 10
; NumVgprs: 2
; ScratchSize: 0
; MemoryBound: 0
; FloatMode: 240
; IeeeMode: 1
; LDSByteSize: 0 bytes/workgroup (compile time only)
; SGPRBlocks: 1
; VGPRBlocks: 0
; NumSGPRsForWavesPerEU: 10
; NumVGPRsForWavesPerEU: 2
; Occupancy: 10
; WaveLimiterHint : 0
; COMPUTE_PGM_RSRC2:SCRATCH_EN: 0
; COMPUTE_PGM_RSRC2:USER_SGPR: 6
; COMPUTE_PGM_RSRC2:TRAP_HANDLER: 0
; COMPUTE_PGM_RSRC2:TGID_X_EN: 1
; COMPUTE_PGM_RSRC2:TGID_Y_EN: 0
; COMPUTE_PGM_RSRC2:TGID_Z_EN: 0
; COMPUTE_PGM_RSRC2:TIDIG_COMP_CNT: 0
	.section	.text._ZN9rocsparseL28csrgeam_nnz_multipass_deviceILj256ELj32EliiEEvllPKT1_PKT2_S3_S6_PT3_21rocsparse_index_base_S9_,"axG",@progbits,_ZN9rocsparseL28csrgeam_nnz_multipass_deviceILj256ELj32EliiEEvllPKT1_PKT2_S3_S6_PT3_21rocsparse_index_base_S9_,comdat
	.globl	_ZN9rocsparseL28csrgeam_nnz_multipass_deviceILj256ELj32EliiEEvllPKT1_PKT2_S3_S6_PT3_21rocsparse_index_base_S9_ ; -- Begin function _ZN9rocsparseL28csrgeam_nnz_multipass_deviceILj256ELj32EliiEEvllPKT1_PKT2_S3_S6_PT3_21rocsparse_index_base_S9_
	.p2align	8
	.type	_ZN9rocsparseL28csrgeam_nnz_multipass_deviceILj256ELj32EliiEEvllPKT1_PKT2_S3_S6_PT3_21rocsparse_index_base_S9_,@function
_ZN9rocsparseL28csrgeam_nnz_multipass_deviceILj256ELj32EliiEEvllPKT1_PKT2_S3_S6_PT3_21rocsparse_index_base_S9_: ; @_ZN9rocsparseL28csrgeam_nnz_multipass_deviceILj256ELj32EliiEEvllPKT1_PKT2_S3_S6_PT3_21rocsparse_index_base_S9_
; %bb.0:
	s_load_dwordx4 s[0:3], s[4:5], 0x0
	s_lshl_b32 s6, s6, 3
	v_lshrrev_b32_e32 v1, 5, v0
	s_and_b32 s6, s6, 0x7fffff8
	v_or_b32_e32 v9, s6, v1
	v_mov_b32_e32 v10, 0
	s_waitcnt lgkmcnt(0)
	v_cmp_gt_i64_e32 vcc, s[0:1], v[9:10]
	s_and_saveexec_b64 s[0:1], vcc
	s_cbranch_execz .LBB6_31
; %bb.1:
	s_load_dwordx4 s[8:11], s[4:5], 0x10
	s_load_dwordx2 s[0:1], s[4:5], 0x20
	v_lshlrev_b32_e32 v10, 3, v9
	s_load_dwordx2 s[6:7], s[4:5], 0x38
	s_waitcnt lgkmcnt(0)
	global_load_dwordx4 v[1:4], v10, s[8:9]
	global_load_dwordx4 v[5:8], v10, s[0:1]
	s_waitcnt vmcnt(1)
	v_cmp_ge_i64_e32 vcc, v[1:2], v[3:4]
	v_subrev_co_u32_e64 v11, s[0:1], s6, v1
	v_subbrev_co_u32_e64 v12, s[0:1], 0, v2, s[0:1]
	s_and_saveexec_b64 s[0:1], vcc
	s_xor_b64 s[0:1], exec, s[0:1]
	s_or_saveexec_b64 s[0:1], s[0:1]
	v_mov_b32_e32 v10, s2
	s_xor_b64 exec, exec, s[0:1]
	s_cbranch_execz .LBB6_3
; %bb.2:
	v_lshlrev_b64 v[1:2], 2, v[11:12]
	v_mov_b32_e32 v10, s11
	v_add_co_u32_e32 v1, vcc, s10, v1
	v_addc_co_u32_e32 v2, vcc, v10, v2, vcc
	global_load_dword v1, v[1:2], off
	s_waitcnt vmcnt(0)
	v_subrev_u32_e32 v10, s6, v1
.LBB6_3:
	s_or_b64 exec, exec, s[0:1]
	s_load_dwordx2 s[8:9], s[4:5], 0x28
	s_waitcnt vmcnt(0)
	v_subrev_co_u32_e32 v13, vcc, s7, v5
	v_subbrev_co_u32_e32 v14, vcc, 0, v6, vcc
	v_cmp_ge_i64_e32 vcc, v[5:6], v[7:8]
	s_mov_b32 s12, s7
	v_mov_b32_e32 v15, s2
	s_and_saveexec_b64 s[0:1], vcc
	s_xor_b64 s[0:1], exec, s[0:1]
; %bb.4:
	v_mov_b32_e32 v15, s2
; %bb.5:
	s_or_saveexec_b64 s[0:1], s[0:1]
	s_load_dwordx2 s[4:5], s[4:5], 0x30
	v_mov_b32_e32 v5, v15
	s_xor_b64 exec, exec, s[0:1]
	s_cbranch_execz .LBB6_7
; %bb.6:
	v_lshlrev_b64 v[1:2], 2, v[13:14]
	s_waitcnt lgkmcnt(0)
	v_mov_b32_e32 v5, s9
	v_add_co_u32_e32 v1, vcc, s8, v1
	v_addc_co_u32_e32 v2, vcc, v5, v2, vcc
	global_load_dword v1, v[1:2], off
	s_waitcnt vmcnt(0)
	v_subrev_u32_e32 v5, s7, v1
.LBB6_7:
	s_or_b64 exec, exec, s[0:1]
	v_subrev_co_u32_e32 v1, vcc, s6, v3
	v_subbrev_co_u32_e32 v2, vcc, 0, v4, vcc
	v_subrev_co_u32_e32 v3, vcc, s12, v7
	v_and_b32_e32 v16, 0xe0, v0
	v_subbrev_co_u32_e32 v4, vcc, 0, v8, vcc
	v_and_b32_e32 v0, 31, v0
	v_min_i32_e32 v10, v5, v10
	v_add_co_u32_e32 v5, vcc, v11, v0
	v_mbcnt_lo_u32_b32 v11, -1, 0
	v_addc_co_u32_e32 v6, vcc, 0, v12, vcc
	v_mbcnt_hi_u32_b32 v11, -1, v11
	v_add_co_u32_e32 v7, vcc, v13, v0
	v_and_b32_e32 v12, 64, v11
	v_addc_co_u32_e32 v8, vcc, 0, v14, vcc
	v_add_u32_e32 v12, 64, v12
	v_xor_b32_e32 v13, 16, v11
	v_cmp_lt_i32_e32 vcc, v13, v12
	v_xor_b32_e32 v14, 8, v11
	v_cndmask_b32_e32 v13, v11, v13, vcc
	v_cmp_lt_i32_e32 vcc, v14, v12
	v_xor_b32_e32 v18, 4, v11
	v_cndmask_b32_e32 v14, v11, v14, vcc
	;; [unrolled: 3-line block ×4, first 2 shown]
	v_cmp_lt_i32_e32 vcc, v20, v12
	v_cndmask_b32_e32 v11, v11, v20, vcc
	v_mov_b32_e32 v17, 0
	s_mov_b32 s20, 0
	v_lshlrev_b32_e32 v13, 2, v13
	v_lshlrev_b32_e32 v14, 2, v14
	;; [unrolled: 1-line block ×5, first 2 shown]
	s_mov_b64 s[12:13], 0
	v_mov_b32_e32 v21, 1
	s_branch .LBB6_10
.LBB6_8:                                ;   in Loop: Header=BB6_10 Depth=1
	s_or_b64 exec, exec, s[16:17]
.LBB6_9:                                ;   in Loop: Header=BB6_10 Depth=1
	s_or_b64 exec, exec, s[14:15]
	ds_bpermute_b32 v10, v13, v23
	s_waitcnt lgkmcnt(0)
	ds_read_u8 v12, v22
	v_min_i32_e32 v10, v10, v23
	ds_bpermute_b32 v11, v14, v10
	s_waitcnt lgkmcnt(1)
	v_cmp_ne_u16_e32 vcc, 0, v12
	s_bcnt1_i32_b64 s0, vcc
	s_add_i32 s20, s20, s0
	s_waitcnt lgkmcnt(0)
	v_min_i32_e32 v10, v11, v10
	ds_bpermute_b32 v11, v18, v10
	s_waitcnt lgkmcnt(0)
	v_min_i32_e32 v10, v11, v10
	ds_bpermute_b32 v11, v19, v10
	;; [unrolled: 3-line block ×3, first 2 shown]
	s_waitcnt lgkmcnt(0)
	v_min_i32_e32 v10, v11, v10
	v_ashrrev_i32_e32 v11, 31, v10
	v_cmp_le_i64_e32 vcc, s[2:3], v[10:11]
	v_mov_b32_e32 v11, s20
	s_or_b64 s[12:13], vcc, s[12:13]
	s_andn2_b64 exec, exec, s[12:13]
	s_cbranch_execz .LBB6_29
.LBB6_10:                               ; =>This Loop Header: Depth=1
                                        ;     Child Loop BB6_13 Depth 2
                                        ;     Child Loop BB6_23 Depth 2
	v_cmp_lt_i64_e32 vcc, v[5:6], v[1:2]
	v_add_u32_e32 v22, v16, v0
	v_mov_b32_e32 v23, v15
	ds_write_b8 v22, v17
	s_waitcnt lgkmcnt(0)
	s_and_saveexec_b64 s[14:15], vcc
	s_cbranch_execz .LBB6_20
; %bb.11:                               ;   in Loop: Header=BB6_10 Depth=1
	v_lshlrev_b64 v[11:12], 2, v[5:6]
	v_mov_b32_e32 v23, s11
	v_add_co_u32_e32 v11, vcc, s10, v11
	v_addc_co_u32_e32 v12, vcc, v23, v12, vcc
	s_mov_b64 s[16:17], 0
	v_mov_b32_e32 v23, v15
	s_branch .LBB6_13
.LBB6_12:                               ;   in Loop: Header=BB6_13 Depth=2
	s_or_b64 exec, exec, s[18:19]
	s_and_b64 s[0:1], exec, s[0:1]
	s_or_b64 s[16:17], s[0:1], s[16:17]
	s_andn2_b64 exec, exec, s[16:17]
	s_cbranch_execz .LBB6_19
.LBB6_13:                               ;   Parent Loop BB6_10 Depth=1
                                        ; =>  This Inner Loop Header: Depth=2
	global_load_dword v24, v[11:12], off
	s_waitcnt vmcnt(0)
	v_subrev_u32_e32 v25, s6, v24
	v_sub_u32_e32 v24, v25, v10
	v_cmp_gt_u32_e32 vcc, 32, v24
	v_cmp_lt_u32_e64 s[0:1], 31, v24
	s_and_saveexec_b64 s[18:19], s[0:1]
	s_xor_b64 s[0:1], exec, s[18:19]
	s_cbranch_execnz .LBB6_16
; %bb.14:                               ;   in Loop: Header=BB6_13 Depth=2
	s_andn2_saveexec_b64 s[0:1], s[0:1]
	s_cbranch_execnz .LBB6_17
.LBB6_15:                               ;   in Loop: Header=BB6_13 Depth=2
	s_or_b64 exec, exec, s[0:1]
	s_mov_b64 s[0:1], -1
	s_and_saveexec_b64 s[18:19], vcc
	s_cbranch_execz .LBB6_12
	s_branch .LBB6_18
.LBB6_16:                               ;   in Loop: Header=BB6_13 Depth=2
	v_min_i32_e32 v23, v25, v23
                                        ; implicit-def: $vgpr24
	s_andn2_saveexec_b64 s[0:1], s[0:1]
	s_cbranch_execz .LBB6_15
.LBB6_17:                               ;   in Loop: Header=BB6_13 Depth=2
	v_add_u32_e32 v24, v16, v24
	ds_write_b8 v24, v21
	s_or_b64 exec, exec, s[0:1]
	s_mov_b64 s[0:1], -1
	s_and_saveexec_b64 s[18:19], vcc
	s_cbranch_execz .LBB6_12
.LBB6_18:                               ;   in Loop: Header=BB6_13 Depth=2
	v_add_co_u32_e32 v5, vcc, 32, v5
	v_addc_co_u32_e32 v6, vcc, 0, v6, vcc
	v_cmp_ge_i64_e64 s[0:1], v[5:6], v[1:2]
	v_add_co_u32_e32 v11, vcc, 0x80, v11
	v_addc_co_u32_e32 v12, vcc, 0, v12, vcc
	s_orn2_b64 s[0:1], s[0:1], exec
	s_branch .LBB6_12
.LBB6_19:                               ;   in Loop: Header=BB6_10 Depth=1
	s_or_b64 exec, exec, s[16:17]
.LBB6_20:                               ;   in Loop: Header=BB6_10 Depth=1
	s_or_b64 exec, exec, s[14:15]
	v_cmp_lt_i64_e32 vcc, v[7:8], v[3:4]
	s_and_saveexec_b64 s[14:15], vcc
	s_cbranch_execz .LBB6_9
; %bb.21:                               ;   in Loop: Header=BB6_10 Depth=1
	v_lshlrev_b64 v[11:12], 2, v[7:8]
	v_mov_b32_e32 v24, s9
	v_add_co_u32_e32 v11, vcc, s8, v11
	v_addc_co_u32_e32 v12, vcc, v24, v12, vcc
	s_mov_b64 s[16:17], 0
	s_branch .LBB6_23
.LBB6_22:                               ;   in Loop: Header=BB6_23 Depth=2
	s_or_b64 exec, exec, s[18:19]
	s_and_b64 s[0:1], exec, s[0:1]
	s_or_b64 s[16:17], s[0:1], s[16:17]
	s_andn2_b64 exec, exec, s[16:17]
	s_cbranch_execz .LBB6_8
.LBB6_23:                               ;   Parent Loop BB6_10 Depth=1
                                        ; =>  This Inner Loop Header: Depth=2
	global_load_dword v24, v[11:12], off
	s_waitcnt vmcnt(0)
	v_subrev_u32_e32 v25, s7, v24
	v_sub_u32_e32 v24, v25, v10
	v_cmp_gt_u32_e32 vcc, 32, v24
	v_cmp_lt_u32_e64 s[0:1], 31, v24
	s_and_saveexec_b64 s[18:19], s[0:1]
	s_xor_b64 s[0:1], exec, s[18:19]
	s_cbranch_execnz .LBB6_26
; %bb.24:                               ;   in Loop: Header=BB6_23 Depth=2
	s_andn2_saveexec_b64 s[0:1], s[0:1]
	s_cbranch_execnz .LBB6_27
.LBB6_25:                               ;   in Loop: Header=BB6_23 Depth=2
	s_or_b64 exec, exec, s[0:1]
	s_mov_b64 s[0:1], -1
	s_and_saveexec_b64 s[18:19], vcc
	s_cbranch_execz .LBB6_22
	s_branch .LBB6_28
.LBB6_26:                               ;   in Loop: Header=BB6_23 Depth=2
	v_min_i32_e32 v23, v25, v23
                                        ; implicit-def: $vgpr24
	s_andn2_saveexec_b64 s[0:1], s[0:1]
	s_cbranch_execz .LBB6_25
.LBB6_27:                               ;   in Loop: Header=BB6_23 Depth=2
	v_add_u32_e32 v24, v16, v24
	ds_write_b8 v24, v21
	s_or_b64 exec, exec, s[0:1]
	s_mov_b64 s[0:1], -1
	s_and_saveexec_b64 s[18:19], vcc
	s_cbranch_execz .LBB6_22
.LBB6_28:                               ;   in Loop: Header=BB6_23 Depth=2
	v_add_co_u32_e32 v7, vcc, 32, v7
	v_addc_co_u32_e32 v8, vcc, 0, v8, vcc
	v_cmp_ge_i64_e64 s[0:1], v[7:8], v[3:4]
	v_add_co_u32_e32 v11, vcc, 0x80, v11
	v_addc_co_u32_e32 v12, vcc, 0, v12, vcc
	s_orn2_b64 s[0:1], s[0:1], exec
	s_branch .LBB6_22
.LBB6_29:
	s_or_b64 exec, exec, s[12:13]
	v_cmp_eq_u32_e32 vcc, 31, v0
	s_and_b64 exec, exec, vcc
	s_cbranch_execz .LBB6_31
; %bb.30:
	v_lshlrev_b32_e32 v0, 2, v9
	global_store_dword v0, v11, s[4:5]
.LBB6_31:
	s_endpgm
	.section	.rodata,"a",@progbits
	.p2align	6, 0x0
	.amdhsa_kernel _ZN9rocsparseL28csrgeam_nnz_multipass_deviceILj256ELj32EliiEEvllPKT1_PKT2_S3_S6_PT3_21rocsparse_index_base_S9_
		.amdhsa_group_segment_fixed_size 256
		.amdhsa_private_segment_fixed_size 0
		.amdhsa_kernarg_size 64
		.amdhsa_user_sgpr_count 6
		.amdhsa_user_sgpr_private_segment_buffer 1
		.amdhsa_user_sgpr_dispatch_ptr 0
		.amdhsa_user_sgpr_queue_ptr 0
		.amdhsa_user_sgpr_kernarg_segment_ptr 1
		.amdhsa_user_sgpr_dispatch_id 0
		.amdhsa_user_sgpr_flat_scratch_init 0
		.amdhsa_user_sgpr_private_segment_size 0
		.amdhsa_uses_dynamic_stack 0
		.amdhsa_system_sgpr_private_segment_wavefront_offset 0
		.amdhsa_system_sgpr_workgroup_id_x 1
		.amdhsa_system_sgpr_workgroup_id_y 0
		.amdhsa_system_sgpr_workgroup_id_z 0
		.amdhsa_system_sgpr_workgroup_info 0
		.amdhsa_system_vgpr_workitem_id 0
		.amdhsa_next_free_vgpr 26
		.amdhsa_next_free_sgpr 21
		.amdhsa_reserve_vcc 1
		.amdhsa_reserve_flat_scratch 0
		.amdhsa_float_round_mode_32 0
		.amdhsa_float_round_mode_16_64 0
		.amdhsa_float_denorm_mode_32 3
		.amdhsa_float_denorm_mode_16_64 3
		.amdhsa_dx10_clamp 1
		.amdhsa_ieee_mode 1
		.amdhsa_fp16_overflow 0
		.amdhsa_exception_fp_ieee_invalid_op 0
		.amdhsa_exception_fp_denorm_src 0
		.amdhsa_exception_fp_ieee_div_zero 0
		.amdhsa_exception_fp_ieee_overflow 0
		.amdhsa_exception_fp_ieee_underflow 0
		.amdhsa_exception_fp_ieee_inexact 0
		.amdhsa_exception_int_div_zero 0
	.end_amdhsa_kernel
	.section	.text._ZN9rocsparseL28csrgeam_nnz_multipass_deviceILj256ELj32EliiEEvllPKT1_PKT2_S3_S6_PT3_21rocsparse_index_base_S9_,"axG",@progbits,_ZN9rocsparseL28csrgeam_nnz_multipass_deviceILj256ELj32EliiEEvllPKT1_PKT2_S3_S6_PT3_21rocsparse_index_base_S9_,comdat
.Lfunc_end6:
	.size	_ZN9rocsparseL28csrgeam_nnz_multipass_deviceILj256ELj32EliiEEvllPKT1_PKT2_S3_S6_PT3_21rocsparse_index_base_S9_, .Lfunc_end6-_ZN9rocsparseL28csrgeam_nnz_multipass_deviceILj256ELj32EliiEEvllPKT1_PKT2_S3_S6_PT3_21rocsparse_index_base_S9_
                                        ; -- End function
	.set _ZN9rocsparseL28csrgeam_nnz_multipass_deviceILj256ELj32EliiEEvllPKT1_PKT2_S3_S6_PT3_21rocsparse_index_base_S9_.num_vgpr, 26
	.set _ZN9rocsparseL28csrgeam_nnz_multipass_deviceILj256ELj32EliiEEvllPKT1_PKT2_S3_S6_PT3_21rocsparse_index_base_S9_.num_agpr, 0
	.set _ZN9rocsparseL28csrgeam_nnz_multipass_deviceILj256ELj32EliiEEvllPKT1_PKT2_S3_S6_PT3_21rocsparse_index_base_S9_.numbered_sgpr, 21
	.set _ZN9rocsparseL28csrgeam_nnz_multipass_deviceILj256ELj32EliiEEvllPKT1_PKT2_S3_S6_PT3_21rocsparse_index_base_S9_.num_named_barrier, 0
	.set _ZN9rocsparseL28csrgeam_nnz_multipass_deviceILj256ELj32EliiEEvllPKT1_PKT2_S3_S6_PT3_21rocsparse_index_base_S9_.private_seg_size, 0
	.set _ZN9rocsparseL28csrgeam_nnz_multipass_deviceILj256ELj32EliiEEvllPKT1_PKT2_S3_S6_PT3_21rocsparse_index_base_S9_.uses_vcc, 1
	.set _ZN9rocsparseL28csrgeam_nnz_multipass_deviceILj256ELj32EliiEEvllPKT1_PKT2_S3_S6_PT3_21rocsparse_index_base_S9_.uses_flat_scratch, 0
	.set _ZN9rocsparseL28csrgeam_nnz_multipass_deviceILj256ELj32EliiEEvllPKT1_PKT2_S3_S6_PT3_21rocsparse_index_base_S9_.has_dyn_sized_stack, 0
	.set _ZN9rocsparseL28csrgeam_nnz_multipass_deviceILj256ELj32EliiEEvllPKT1_PKT2_S3_S6_PT3_21rocsparse_index_base_S9_.has_recursion, 0
	.set _ZN9rocsparseL28csrgeam_nnz_multipass_deviceILj256ELj32EliiEEvllPKT1_PKT2_S3_S6_PT3_21rocsparse_index_base_S9_.has_indirect_call, 0
	.section	.AMDGPU.csdata,"",@progbits
; Kernel info:
; codeLenInByte = 1084
; TotalNumSgprs: 25
; NumVgprs: 26
; ScratchSize: 0
; MemoryBound: 0
; FloatMode: 240
; IeeeMode: 1
; LDSByteSize: 256 bytes/workgroup (compile time only)
; SGPRBlocks: 3
; VGPRBlocks: 6
; NumSGPRsForWavesPerEU: 25
; NumVGPRsForWavesPerEU: 26
; Occupancy: 9
; WaveLimiterHint : 1
; COMPUTE_PGM_RSRC2:SCRATCH_EN: 0
; COMPUTE_PGM_RSRC2:USER_SGPR: 6
; COMPUTE_PGM_RSRC2:TRAP_HANDLER: 0
; COMPUTE_PGM_RSRC2:TGID_X_EN: 1
; COMPUTE_PGM_RSRC2:TGID_Y_EN: 0
; COMPUTE_PGM_RSRC2:TGID_Z_EN: 0
; COMPUTE_PGM_RSRC2:TIDIG_COMP_CNT: 0
	.section	.text._ZN9rocsparseL28csrgeam_nnz_multipass_deviceILj256ELj32ElilEEvllPKT1_PKT2_S3_S6_PT3_21rocsparse_index_base_S9_,"axG",@progbits,_ZN9rocsparseL28csrgeam_nnz_multipass_deviceILj256ELj32ElilEEvllPKT1_PKT2_S3_S6_PT3_21rocsparse_index_base_S9_,comdat
	.globl	_ZN9rocsparseL28csrgeam_nnz_multipass_deviceILj256ELj32ElilEEvllPKT1_PKT2_S3_S6_PT3_21rocsparse_index_base_S9_ ; -- Begin function _ZN9rocsparseL28csrgeam_nnz_multipass_deviceILj256ELj32ElilEEvllPKT1_PKT2_S3_S6_PT3_21rocsparse_index_base_S9_
	.p2align	8
	.type	_ZN9rocsparseL28csrgeam_nnz_multipass_deviceILj256ELj32ElilEEvllPKT1_PKT2_S3_S6_PT3_21rocsparse_index_base_S9_,@function
_ZN9rocsparseL28csrgeam_nnz_multipass_deviceILj256ELj32ElilEEvllPKT1_PKT2_S3_S6_PT3_21rocsparse_index_base_S9_: ; @_ZN9rocsparseL28csrgeam_nnz_multipass_deviceILj256ELj32ElilEEvllPKT1_PKT2_S3_S6_PT3_21rocsparse_index_base_S9_
; %bb.0:
	s_load_dwordx4 s[0:3], s[4:5], 0x0
	s_lshl_b32 s6, s6, 3
	v_lshrrev_b32_e32 v1, 5, v0
	s_and_b32 s6, s6, 0x7fffff8
	v_or_b32_e32 v1, s6, v1
	v_mov_b32_e32 v2, 0
	s_waitcnt lgkmcnt(0)
	v_cmp_gt_i64_e32 vcc, s[0:1], v[1:2]
	s_and_saveexec_b64 s[0:1], vcc
	s_cbranch_execz .LBB7_31
; %bb.1:
	s_load_dwordx4 s[8:11], s[4:5], 0x10
	s_load_dwordx2 s[0:1], s[4:5], 0x20
	v_lshlrev_b32_e32 v14, 3, v1
	s_load_dwordx2 s[6:7], s[4:5], 0x38
	s_waitcnt lgkmcnt(0)
	global_load_dwordx4 v[1:4], v14, s[8:9]
	global_load_dwordx4 v[5:8], v14, s[0:1]
	s_waitcnt vmcnt(1)
	v_cmp_ge_i64_e32 vcc, v[1:2], v[3:4]
	v_subrev_co_u32_e64 v10, s[0:1], s6, v1
	v_subbrev_co_u32_e64 v11, s[0:1], 0, v2, s[0:1]
	s_and_saveexec_b64 s[0:1], vcc
	s_xor_b64 s[0:1], exec, s[0:1]
	s_or_saveexec_b64 s[0:1], s[0:1]
	v_mov_b32_e32 v9, s2
	s_xor_b64 exec, exec, s[0:1]
	s_cbranch_execz .LBB7_3
; %bb.2:
	v_lshlrev_b64 v[1:2], 2, v[10:11]
	v_mov_b32_e32 v9, s11
	v_add_co_u32_e32 v1, vcc, s10, v1
	v_addc_co_u32_e32 v2, vcc, v9, v2, vcc
	global_load_dword v1, v[1:2], off
	s_waitcnt vmcnt(0)
	v_subrev_u32_e32 v9, s6, v1
.LBB7_3:
	s_or_b64 exec, exec, s[0:1]
	s_load_dwordx2 s[8:9], s[4:5], 0x28
	s_waitcnt vmcnt(0)
	v_subrev_co_u32_e32 v12, vcc, s7, v5
	v_subbrev_co_u32_e32 v13, vcc, 0, v6, vcc
	v_cmp_ge_i64_e32 vcc, v[5:6], v[7:8]
	s_mov_b32 s12, s7
	v_mov_b32_e32 v15, s2
	s_and_saveexec_b64 s[0:1], vcc
	s_xor_b64 s[0:1], exec, s[0:1]
; %bb.4:
	v_mov_b32_e32 v15, s2
; %bb.5:
	s_or_saveexec_b64 s[0:1], s[0:1]
	s_load_dwordx2 s[4:5], s[4:5], 0x30
	v_mov_b32_e32 v5, v15
	s_xor_b64 exec, exec, s[0:1]
	s_cbranch_execz .LBB7_7
; %bb.6:
	v_lshlrev_b64 v[1:2], 2, v[12:13]
	s_waitcnt lgkmcnt(0)
	v_mov_b32_e32 v5, s9
	v_add_co_u32_e32 v1, vcc, s8, v1
	v_addc_co_u32_e32 v2, vcc, v5, v2, vcc
	global_load_dword v1, v[1:2], off
	s_waitcnt vmcnt(0)
	v_subrev_u32_e32 v5, s7, v1
.LBB7_7:
	s_or_b64 exec, exec, s[0:1]
	v_subrev_co_u32_e32 v1, vcc, s6, v3
	v_subbrev_co_u32_e32 v2, vcc, 0, v4, vcc
	v_subrev_co_u32_e32 v3, vcc, s12, v7
	v_and_b32_e32 v16, 0xe0, v0
	v_subbrev_co_u32_e32 v4, vcc, 0, v8, vcc
	v_and_b32_e32 v0, 31, v0
	v_min_i32_e32 v9, v5, v9
	v_add_co_u32_e32 v5, vcc, v10, v0
	v_mbcnt_lo_u32_b32 v10, -1, 0
	v_addc_co_u32_e32 v6, vcc, 0, v11, vcc
	v_mbcnt_hi_u32_b32 v10, -1, v10
	v_add_co_u32_e32 v7, vcc, v12, v0
	v_and_b32_e32 v11, 64, v10
	v_addc_co_u32_e32 v8, vcc, 0, v13, vcc
	v_add_u32_e32 v11, 64, v11
	v_xor_b32_e32 v12, 16, v10
	v_cmp_lt_i32_e32 vcc, v12, v11
	v_xor_b32_e32 v13, 8, v10
	v_cndmask_b32_e32 v12, v10, v12, vcc
	v_cmp_lt_i32_e32 vcc, v13, v11
	v_xor_b32_e32 v18, 4, v10
	v_cndmask_b32_e32 v13, v10, v13, vcc
	;; [unrolled: 3-line block ×4, first 2 shown]
	v_cmp_lt_i32_e32 vcc, v20, v11
	v_cndmask_b32_e32 v10, v10, v20, vcc
	v_mov_b32_e32 v17, 0
	v_lshlrev_b32_e32 v12, 2, v12
	v_lshlrev_b32_e32 v13, 2, v13
	;; [unrolled: 1-line block ×5, first 2 shown]
	s_mov_b64 s[12:13], 0
	v_mov_b32_e32 v21, 1
	s_mov_b64 s[14:15], 0
	s_branch .LBB7_10
.LBB7_8:                                ;   in Loop: Header=BB7_10 Depth=1
	s_or_b64 exec, exec, s[18:19]
.LBB7_9:                                ;   in Loop: Header=BB7_10 Depth=1
	s_or_b64 exec, exec, s[16:17]
	ds_bpermute_b32 v9, v12, v23
	s_waitcnt lgkmcnt(0)
	ds_read_u8 v11, v22
	v_min_i32_e32 v9, v9, v23
	ds_bpermute_b32 v10, v13, v9
	s_waitcnt lgkmcnt(1)
	v_cmp_ne_u16_e32 vcc, 0, v11
	s_bcnt1_i32_b64 s0, vcc
	s_add_u32 s14, s0, s14
	s_addc_u32 s15, 0, s15
	s_waitcnt lgkmcnt(0)
	v_min_i32_e32 v9, v10, v9
	ds_bpermute_b32 v10, v18, v9
	s_waitcnt lgkmcnt(0)
	v_min_i32_e32 v9, v10, v9
	ds_bpermute_b32 v10, v19, v9
	;; [unrolled: 3-line block ×3, first 2 shown]
	s_waitcnt lgkmcnt(0)
	v_min_i32_e32 v9, v10, v9
	v_ashrrev_i32_e32 v10, 31, v9
	v_cmp_le_i64_e32 vcc, s[2:3], v[9:10]
	v_mov_b32_e32 v10, s14
	s_or_b64 s[12:13], vcc, s[12:13]
	v_mov_b32_e32 v11, s15
	s_andn2_b64 exec, exec, s[12:13]
	s_cbranch_execz .LBB7_29
.LBB7_10:                               ; =>This Loop Header: Depth=1
                                        ;     Child Loop BB7_13 Depth 2
                                        ;     Child Loop BB7_23 Depth 2
	v_cmp_lt_i64_e32 vcc, v[5:6], v[1:2]
	v_add_u32_e32 v22, v16, v0
	v_mov_b32_e32 v23, v15
	ds_write_b8 v22, v17
	s_waitcnt lgkmcnt(0)
	s_and_saveexec_b64 s[16:17], vcc
	s_cbranch_execz .LBB7_20
; %bb.11:                               ;   in Loop: Header=BB7_10 Depth=1
	v_lshlrev_b64 v[10:11], 2, v[5:6]
	v_mov_b32_e32 v23, s11
	v_add_co_u32_e32 v10, vcc, s10, v10
	v_addc_co_u32_e32 v11, vcc, v23, v11, vcc
	s_mov_b64 s[18:19], 0
	v_mov_b32_e32 v23, v15
	s_branch .LBB7_13
.LBB7_12:                               ;   in Loop: Header=BB7_13 Depth=2
	s_or_b64 exec, exec, s[20:21]
	s_and_b64 s[0:1], exec, s[0:1]
	s_or_b64 s[18:19], s[0:1], s[18:19]
	s_andn2_b64 exec, exec, s[18:19]
	s_cbranch_execz .LBB7_19
.LBB7_13:                               ;   Parent Loop BB7_10 Depth=1
                                        ; =>  This Inner Loop Header: Depth=2
	global_load_dword v24, v[10:11], off
	s_waitcnt vmcnt(0)
	v_subrev_u32_e32 v25, s6, v24
	v_sub_u32_e32 v24, v25, v9
	v_cmp_gt_u32_e32 vcc, 32, v24
	v_cmp_lt_u32_e64 s[0:1], 31, v24
	s_and_saveexec_b64 s[20:21], s[0:1]
	s_xor_b64 s[0:1], exec, s[20:21]
	s_cbranch_execnz .LBB7_16
; %bb.14:                               ;   in Loop: Header=BB7_13 Depth=2
	s_andn2_saveexec_b64 s[0:1], s[0:1]
	s_cbranch_execnz .LBB7_17
.LBB7_15:                               ;   in Loop: Header=BB7_13 Depth=2
	s_or_b64 exec, exec, s[0:1]
	s_mov_b64 s[0:1], -1
	s_and_saveexec_b64 s[20:21], vcc
	s_cbranch_execz .LBB7_12
	s_branch .LBB7_18
.LBB7_16:                               ;   in Loop: Header=BB7_13 Depth=2
	v_min_i32_e32 v23, v25, v23
                                        ; implicit-def: $vgpr24
	s_andn2_saveexec_b64 s[0:1], s[0:1]
	s_cbranch_execz .LBB7_15
.LBB7_17:                               ;   in Loop: Header=BB7_13 Depth=2
	v_add_u32_e32 v24, v16, v24
	ds_write_b8 v24, v21
	s_or_b64 exec, exec, s[0:1]
	s_mov_b64 s[0:1], -1
	s_and_saveexec_b64 s[20:21], vcc
	s_cbranch_execz .LBB7_12
.LBB7_18:                               ;   in Loop: Header=BB7_13 Depth=2
	v_add_co_u32_e32 v5, vcc, 32, v5
	v_addc_co_u32_e32 v6, vcc, 0, v6, vcc
	v_cmp_ge_i64_e64 s[0:1], v[5:6], v[1:2]
	v_add_co_u32_e32 v10, vcc, 0x80, v10
	v_addc_co_u32_e32 v11, vcc, 0, v11, vcc
	s_orn2_b64 s[0:1], s[0:1], exec
	s_branch .LBB7_12
.LBB7_19:                               ;   in Loop: Header=BB7_10 Depth=1
	s_or_b64 exec, exec, s[18:19]
.LBB7_20:                               ;   in Loop: Header=BB7_10 Depth=1
	s_or_b64 exec, exec, s[16:17]
	v_cmp_lt_i64_e32 vcc, v[7:8], v[3:4]
	s_and_saveexec_b64 s[16:17], vcc
	s_cbranch_execz .LBB7_9
; %bb.21:                               ;   in Loop: Header=BB7_10 Depth=1
	v_lshlrev_b64 v[10:11], 2, v[7:8]
	v_mov_b32_e32 v24, s9
	v_add_co_u32_e32 v10, vcc, s8, v10
	v_addc_co_u32_e32 v11, vcc, v24, v11, vcc
	s_mov_b64 s[18:19], 0
	s_branch .LBB7_23
.LBB7_22:                               ;   in Loop: Header=BB7_23 Depth=2
	s_or_b64 exec, exec, s[20:21]
	s_and_b64 s[0:1], exec, s[0:1]
	s_or_b64 s[18:19], s[0:1], s[18:19]
	s_andn2_b64 exec, exec, s[18:19]
	s_cbranch_execz .LBB7_8
.LBB7_23:                               ;   Parent Loop BB7_10 Depth=1
                                        ; =>  This Inner Loop Header: Depth=2
	global_load_dword v24, v[10:11], off
	s_waitcnt vmcnt(0)
	v_subrev_u32_e32 v25, s7, v24
	v_sub_u32_e32 v24, v25, v9
	v_cmp_gt_u32_e32 vcc, 32, v24
	v_cmp_lt_u32_e64 s[0:1], 31, v24
	s_and_saveexec_b64 s[20:21], s[0:1]
	s_xor_b64 s[0:1], exec, s[20:21]
	s_cbranch_execnz .LBB7_26
; %bb.24:                               ;   in Loop: Header=BB7_23 Depth=2
	s_andn2_saveexec_b64 s[0:1], s[0:1]
	s_cbranch_execnz .LBB7_27
.LBB7_25:                               ;   in Loop: Header=BB7_23 Depth=2
	s_or_b64 exec, exec, s[0:1]
	s_mov_b64 s[0:1], -1
	s_and_saveexec_b64 s[20:21], vcc
	s_cbranch_execz .LBB7_22
	s_branch .LBB7_28
.LBB7_26:                               ;   in Loop: Header=BB7_23 Depth=2
	v_min_i32_e32 v23, v25, v23
                                        ; implicit-def: $vgpr24
	s_andn2_saveexec_b64 s[0:1], s[0:1]
	s_cbranch_execz .LBB7_25
.LBB7_27:                               ;   in Loop: Header=BB7_23 Depth=2
	v_add_u32_e32 v24, v16, v24
	ds_write_b8 v24, v21
	s_or_b64 exec, exec, s[0:1]
	s_mov_b64 s[0:1], -1
	s_and_saveexec_b64 s[20:21], vcc
	s_cbranch_execz .LBB7_22
.LBB7_28:                               ;   in Loop: Header=BB7_23 Depth=2
	v_add_co_u32_e32 v7, vcc, 32, v7
	v_addc_co_u32_e32 v8, vcc, 0, v8, vcc
	v_cmp_ge_i64_e64 s[0:1], v[7:8], v[3:4]
	v_add_co_u32_e32 v10, vcc, 0x80, v10
	v_addc_co_u32_e32 v11, vcc, 0, v11, vcc
	s_orn2_b64 s[0:1], s[0:1], exec
	s_branch .LBB7_22
.LBB7_29:
	s_or_b64 exec, exec, s[12:13]
	v_cmp_eq_u32_e32 vcc, 31, v0
	s_and_b64 exec, exec, vcc
	s_cbranch_execz .LBB7_31
; %bb.30:
	global_store_dwordx2 v14, v[10:11], s[4:5]
.LBB7_31:
	s_endpgm
	.section	.rodata,"a",@progbits
	.p2align	6, 0x0
	.amdhsa_kernel _ZN9rocsparseL28csrgeam_nnz_multipass_deviceILj256ELj32ElilEEvllPKT1_PKT2_S3_S6_PT3_21rocsparse_index_base_S9_
		.amdhsa_group_segment_fixed_size 256
		.amdhsa_private_segment_fixed_size 0
		.amdhsa_kernarg_size 64
		.amdhsa_user_sgpr_count 6
		.amdhsa_user_sgpr_private_segment_buffer 1
		.amdhsa_user_sgpr_dispatch_ptr 0
		.amdhsa_user_sgpr_queue_ptr 0
		.amdhsa_user_sgpr_kernarg_segment_ptr 1
		.amdhsa_user_sgpr_dispatch_id 0
		.amdhsa_user_sgpr_flat_scratch_init 0
		.amdhsa_user_sgpr_private_segment_size 0
		.amdhsa_uses_dynamic_stack 0
		.amdhsa_system_sgpr_private_segment_wavefront_offset 0
		.amdhsa_system_sgpr_workgroup_id_x 1
		.amdhsa_system_sgpr_workgroup_id_y 0
		.amdhsa_system_sgpr_workgroup_id_z 0
		.amdhsa_system_sgpr_workgroup_info 0
		.amdhsa_system_vgpr_workitem_id 0
		.amdhsa_next_free_vgpr 26
		.amdhsa_next_free_sgpr 22
		.amdhsa_reserve_vcc 1
		.amdhsa_reserve_flat_scratch 0
		.amdhsa_float_round_mode_32 0
		.amdhsa_float_round_mode_16_64 0
		.amdhsa_float_denorm_mode_32 3
		.amdhsa_float_denorm_mode_16_64 3
		.amdhsa_dx10_clamp 1
		.amdhsa_ieee_mode 1
		.amdhsa_fp16_overflow 0
		.amdhsa_exception_fp_ieee_invalid_op 0
		.amdhsa_exception_fp_denorm_src 0
		.amdhsa_exception_fp_ieee_div_zero 0
		.amdhsa_exception_fp_ieee_overflow 0
		.amdhsa_exception_fp_ieee_underflow 0
		.amdhsa_exception_fp_ieee_inexact 0
		.amdhsa_exception_int_div_zero 0
	.end_amdhsa_kernel
	.section	.text._ZN9rocsparseL28csrgeam_nnz_multipass_deviceILj256ELj32ElilEEvllPKT1_PKT2_S3_S6_PT3_21rocsparse_index_base_S9_,"axG",@progbits,_ZN9rocsparseL28csrgeam_nnz_multipass_deviceILj256ELj32ElilEEvllPKT1_PKT2_S3_S6_PT3_21rocsparse_index_base_S9_,comdat
.Lfunc_end7:
	.size	_ZN9rocsparseL28csrgeam_nnz_multipass_deviceILj256ELj32ElilEEvllPKT1_PKT2_S3_S6_PT3_21rocsparse_index_base_S9_, .Lfunc_end7-_ZN9rocsparseL28csrgeam_nnz_multipass_deviceILj256ELj32ElilEEvllPKT1_PKT2_S3_S6_PT3_21rocsparse_index_base_S9_
                                        ; -- End function
	.set _ZN9rocsparseL28csrgeam_nnz_multipass_deviceILj256ELj32ElilEEvllPKT1_PKT2_S3_S6_PT3_21rocsparse_index_base_S9_.num_vgpr, 26
	.set _ZN9rocsparseL28csrgeam_nnz_multipass_deviceILj256ELj32ElilEEvllPKT1_PKT2_S3_S6_PT3_21rocsparse_index_base_S9_.num_agpr, 0
	.set _ZN9rocsparseL28csrgeam_nnz_multipass_deviceILj256ELj32ElilEEvllPKT1_PKT2_S3_S6_PT3_21rocsparse_index_base_S9_.numbered_sgpr, 22
	.set _ZN9rocsparseL28csrgeam_nnz_multipass_deviceILj256ELj32ElilEEvllPKT1_PKT2_S3_S6_PT3_21rocsparse_index_base_S9_.num_named_barrier, 0
	.set _ZN9rocsparseL28csrgeam_nnz_multipass_deviceILj256ELj32ElilEEvllPKT1_PKT2_S3_S6_PT3_21rocsparse_index_base_S9_.private_seg_size, 0
	.set _ZN9rocsparseL28csrgeam_nnz_multipass_deviceILj256ELj32ElilEEvllPKT1_PKT2_S3_S6_PT3_21rocsparse_index_base_S9_.uses_vcc, 1
	.set _ZN9rocsparseL28csrgeam_nnz_multipass_deviceILj256ELj32ElilEEvllPKT1_PKT2_S3_S6_PT3_21rocsparse_index_base_S9_.uses_flat_scratch, 0
	.set _ZN9rocsparseL28csrgeam_nnz_multipass_deviceILj256ELj32ElilEEvllPKT1_PKT2_S3_S6_PT3_21rocsparse_index_base_S9_.has_dyn_sized_stack, 0
	.set _ZN9rocsparseL28csrgeam_nnz_multipass_deviceILj256ELj32ElilEEvllPKT1_PKT2_S3_S6_PT3_21rocsparse_index_base_S9_.has_recursion, 0
	.set _ZN9rocsparseL28csrgeam_nnz_multipass_deviceILj256ELj32ElilEEvllPKT1_PKT2_S3_S6_PT3_21rocsparse_index_base_S9_.has_indirect_call, 0
	.section	.AMDGPU.csdata,"",@progbits
; Kernel info:
; codeLenInByte = 1088
; TotalNumSgprs: 26
; NumVgprs: 26
; ScratchSize: 0
; MemoryBound: 0
; FloatMode: 240
; IeeeMode: 1
; LDSByteSize: 256 bytes/workgroup (compile time only)
; SGPRBlocks: 3
; VGPRBlocks: 6
; NumSGPRsForWavesPerEU: 26
; NumVGPRsForWavesPerEU: 26
; Occupancy: 9
; WaveLimiterHint : 1
; COMPUTE_PGM_RSRC2:SCRATCH_EN: 0
; COMPUTE_PGM_RSRC2:USER_SGPR: 6
; COMPUTE_PGM_RSRC2:TRAP_HANDLER: 0
; COMPUTE_PGM_RSRC2:TGID_X_EN: 1
; COMPUTE_PGM_RSRC2:TGID_Y_EN: 0
; COMPUTE_PGM_RSRC2:TGID_Z_EN: 0
; COMPUTE_PGM_RSRC2:TIDIG_COMP_CNT: 0
	.section	.text._ZN9rocsparseL28csrgeam_nnz_multipass_deviceILj256ELj64EliiEEvllPKT1_PKT2_S3_S6_PT3_21rocsparse_index_base_S9_,"axG",@progbits,_ZN9rocsparseL28csrgeam_nnz_multipass_deviceILj256ELj64EliiEEvllPKT1_PKT2_S3_S6_PT3_21rocsparse_index_base_S9_,comdat
	.globl	_ZN9rocsparseL28csrgeam_nnz_multipass_deviceILj256ELj64EliiEEvllPKT1_PKT2_S3_S6_PT3_21rocsparse_index_base_S9_ ; -- Begin function _ZN9rocsparseL28csrgeam_nnz_multipass_deviceILj256ELj64EliiEEvllPKT1_PKT2_S3_S6_PT3_21rocsparse_index_base_S9_
	.p2align	8
	.type	_ZN9rocsparseL28csrgeam_nnz_multipass_deviceILj256ELj64EliiEEvllPKT1_PKT2_S3_S6_PT3_21rocsparse_index_base_S9_,@function
_ZN9rocsparseL28csrgeam_nnz_multipass_deviceILj256ELj64EliiEEvllPKT1_PKT2_S3_S6_PT3_21rocsparse_index_base_S9_: ; @_ZN9rocsparseL28csrgeam_nnz_multipass_deviceILj256ELj64EliiEEvllPKT1_PKT2_S3_S6_PT3_21rocsparse_index_base_S9_
; %bb.0:
	s_load_dwordx4 s[0:3], s[4:5], 0x0
	s_lshl_b32 s6, s6, 2
	v_lshrrev_b32_e32 v1, 6, v0
	s_and_b32 s6, s6, 0x3fffffc
	v_or_b32_e32 v9, s6, v1
	v_mov_b32_e32 v10, 0
	s_waitcnt lgkmcnt(0)
	v_cmp_gt_i64_e32 vcc, s[0:1], v[9:10]
	s_and_saveexec_b64 s[0:1], vcc
	s_cbranch_execz .LBB8_31
; %bb.1:
	s_load_dwordx4 s[8:11], s[4:5], 0x10
	s_load_dwordx2 s[0:1], s[4:5], 0x20
	v_lshlrev_b32_e32 v10, 3, v9
	s_load_dwordx2 s[6:7], s[4:5], 0x38
	s_waitcnt lgkmcnt(0)
	global_load_dwordx4 v[1:4], v10, s[8:9]
	global_load_dwordx4 v[5:8], v10, s[0:1]
	s_waitcnt vmcnt(1)
	v_cmp_ge_i64_e32 vcc, v[1:2], v[3:4]
	v_subrev_co_u32_e64 v11, s[0:1], s6, v1
	v_subbrev_co_u32_e64 v12, s[0:1], 0, v2, s[0:1]
	s_and_saveexec_b64 s[0:1], vcc
	s_xor_b64 s[0:1], exec, s[0:1]
	s_or_saveexec_b64 s[0:1], s[0:1]
	v_mov_b32_e32 v10, s2
	s_xor_b64 exec, exec, s[0:1]
	s_cbranch_execz .LBB8_3
; %bb.2:
	v_lshlrev_b64 v[1:2], 2, v[11:12]
	v_mov_b32_e32 v10, s11
	v_add_co_u32_e32 v1, vcc, s10, v1
	v_addc_co_u32_e32 v2, vcc, v10, v2, vcc
	global_load_dword v1, v[1:2], off
	s_waitcnt vmcnt(0)
	v_subrev_u32_e32 v10, s6, v1
.LBB8_3:
	s_or_b64 exec, exec, s[0:1]
	s_load_dwordx2 s[8:9], s[4:5], 0x28
	s_waitcnt vmcnt(0)
	v_subrev_co_u32_e32 v13, vcc, s7, v5
	v_subbrev_co_u32_e32 v14, vcc, 0, v6, vcc
	v_cmp_ge_i64_e32 vcc, v[5:6], v[7:8]
	s_mov_b32 s12, s7
	v_mov_b32_e32 v15, s2
	s_and_saveexec_b64 s[0:1], vcc
	s_xor_b64 s[0:1], exec, s[0:1]
; %bb.4:
	v_mov_b32_e32 v15, s2
; %bb.5:
	s_or_saveexec_b64 s[0:1], s[0:1]
	s_load_dwordx2 s[4:5], s[4:5], 0x30
	v_mov_b32_e32 v5, v15
	s_xor_b64 exec, exec, s[0:1]
	s_cbranch_execz .LBB8_7
; %bb.6:
	v_lshlrev_b64 v[1:2], 2, v[13:14]
	s_waitcnt lgkmcnt(0)
	v_mov_b32_e32 v5, s9
	v_add_co_u32_e32 v1, vcc, s8, v1
	v_addc_co_u32_e32 v2, vcc, v5, v2, vcc
	global_load_dword v1, v[1:2], off
	s_waitcnt vmcnt(0)
	v_subrev_u32_e32 v5, s7, v1
.LBB8_7:
	s_or_b64 exec, exec, s[0:1]
	v_subrev_co_u32_e32 v1, vcc, s6, v3
	v_subbrev_co_u32_e32 v2, vcc, 0, v4, vcc
	v_subrev_co_u32_e32 v3, vcc, s12, v7
	v_and_b32_e32 v16, 0xc0, v0
	v_subbrev_co_u32_e32 v4, vcc, 0, v8, vcc
	v_and_b32_e32 v0, 63, v0
	v_min_i32_e32 v10, v5, v10
	v_add_co_u32_e32 v5, vcc, v11, v0
	v_mbcnt_lo_u32_b32 v11, -1, 0
	v_addc_co_u32_e32 v6, vcc, 0, v12, vcc
	v_mbcnt_hi_u32_b32 v11, -1, v11
	v_add_co_u32_e32 v7, vcc, v13, v0
	v_and_b32_e32 v12, 64, v11
	v_addc_co_u32_e32 v8, vcc, 0, v14, vcc
	v_add_u32_e32 v12, 64, v12
	v_xor_b32_e32 v14, 32, v11
	v_xor_b32_e32 v17, 16, v11
	v_cmp_lt_i32_e32 vcc, v14, v12
	v_xor_b32_e32 v18, 8, v11
	v_cndmask_b32_e32 v14, v11, v14, vcc
	v_cmp_lt_i32_e32 vcc, v17, v12
	v_xor_b32_e32 v19, 4, v11
	v_cndmask_b32_e32 v17, v11, v17, vcc
	v_cmp_lt_i32_e32 vcc, v18, v12
	v_xor_b32_e32 v20, 2, v11
	v_cndmask_b32_e32 v18, v11, v18, vcc
	v_cmp_lt_i32_e32 vcc, v19, v12
	v_xor_b32_e32 v21, 1, v11
	v_cndmask_b32_e32 v19, v11, v19, vcc
	v_cmp_lt_i32_e32 vcc, v20, v12
	v_cndmask_b32_e32 v20, v11, v20, vcc
	v_cmp_lt_i32_e32 vcc, v21, v12
	v_cndmask_b32_e32 v11, v11, v21, vcc
	v_mov_b32_e32 v13, 0
	s_mov_b32 s20, 0
	v_lshlrev_b32_e32 v14, 2, v14
	v_lshlrev_b32_e32 v17, 2, v17
	v_lshlrev_b32_e32 v18, 2, v18
	v_lshlrev_b32_e32 v19, 2, v19
	v_lshlrev_b32_e32 v20, 2, v20
	v_lshlrev_b32_e32 v21, 2, v11
	s_mov_b64 s[12:13], 0
	v_mov_b32_e32 v22, 1
	s_branch .LBB8_10
.LBB8_8:                                ;   in Loop: Header=BB8_10 Depth=1
	s_or_b64 exec, exec, s[16:17]
.LBB8_9:                                ;   in Loop: Header=BB8_10 Depth=1
	s_or_b64 exec, exec, s[14:15]
	ds_bpermute_b32 v10, v14, v24
	s_waitcnt lgkmcnt(0)
	ds_read_u8 v12, v23
	v_min_i32_e32 v10, v10, v24
	ds_bpermute_b32 v11, v17, v10
	s_waitcnt lgkmcnt(1)
	v_cmp_ne_u16_e32 vcc, 0, v12
	s_bcnt1_i32_b64 s0, vcc
	s_add_i32 s20, s20, s0
	s_waitcnt lgkmcnt(0)
	v_min_i32_e32 v10, v11, v10
	ds_bpermute_b32 v11, v18, v10
	s_waitcnt lgkmcnt(0)
	v_min_i32_e32 v10, v11, v10
	ds_bpermute_b32 v11, v19, v10
	;; [unrolled: 3-line block ×4, first 2 shown]
	s_waitcnt lgkmcnt(0)
	v_min_i32_e32 v10, v11, v10
	v_ashrrev_i32_e32 v11, 31, v10
	v_cmp_le_i64_e32 vcc, s[2:3], v[10:11]
	v_mov_b32_e32 v11, s20
	s_or_b64 s[12:13], vcc, s[12:13]
	s_andn2_b64 exec, exec, s[12:13]
	s_cbranch_execz .LBB8_29
.LBB8_10:                               ; =>This Loop Header: Depth=1
                                        ;     Child Loop BB8_13 Depth 2
                                        ;     Child Loop BB8_23 Depth 2
	v_cmp_lt_i64_e32 vcc, v[5:6], v[1:2]
	v_add_u32_e32 v23, v16, v0
	v_mov_b32_e32 v24, v15
	ds_write_b8 v23, v13
	s_waitcnt lgkmcnt(0)
	s_and_saveexec_b64 s[14:15], vcc
	s_cbranch_execz .LBB8_20
; %bb.11:                               ;   in Loop: Header=BB8_10 Depth=1
	v_lshlrev_b64 v[11:12], 2, v[5:6]
	v_mov_b32_e32 v24, s11
	v_add_co_u32_e32 v11, vcc, s10, v11
	v_addc_co_u32_e32 v12, vcc, v24, v12, vcc
	s_mov_b64 s[16:17], 0
	v_mov_b32_e32 v24, v15
	s_branch .LBB8_13
.LBB8_12:                               ;   in Loop: Header=BB8_13 Depth=2
	s_or_b64 exec, exec, s[18:19]
	s_and_b64 s[0:1], exec, s[0:1]
	s_or_b64 s[16:17], s[0:1], s[16:17]
	s_andn2_b64 exec, exec, s[16:17]
	s_cbranch_execz .LBB8_19
.LBB8_13:                               ;   Parent Loop BB8_10 Depth=1
                                        ; =>  This Inner Loop Header: Depth=2
	global_load_dword v25, v[11:12], off
	s_waitcnt vmcnt(0)
	v_subrev_u32_e32 v26, s6, v25
	v_sub_u32_e32 v25, v26, v10
	v_cmp_gt_u32_e32 vcc, 64, v25
	v_cmp_lt_u32_e64 s[0:1], 63, v25
	s_and_saveexec_b64 s[18:19], s[0:1]
	s_xor_b64 s[0:1], exec, s[18:19]
	s_cbranch_execnz .LBB8_16
; %bb.14:                               ;   in Loop: Header=BB8_13 Depth=2
	s_andn2_saveexec_b64 s[0:1], s[0:1]
	s_cbranch_execnz .LBB8_17
.LBB8_15:                               ;   in Loop: Header=BB8_13 Depth=2
	s_or_b64 exec, exec, s[0:1]
	s_mov_b64 s[0:1], -1
	s_and_saveexec_b64 s[18:19], vcc
	s_cbranch_execz .LBB8_12
	s_branch .LBB8_18
.LBB8_16:                               ;   in Loop: Header=BB8_13 Depth=2
	v_min_i32_e32 v24, v26, v24
                                        ; implicit-def: $vgpr25
	s_andn2_saveexec_b64 s[0:1], s[0:1]
	s_cbranch_execz .LBB8_15
.LBB8_17:                               ;   in Loop: Header=BB8_13 Depth=2
	v_add_u32_e32 v25, v16, v25
	ds_write_b8 v25, v22
	s_or_b64 exec, exec, s[0:1]
	s_mov_b64 s[0:1], -1
	s_and_saveexec_b64 s[18:19], vcc
	s_cbranch_execz .LBB8_12
.LBB8_18:                               ;   in Loop: Header=BB8_13 Depth=2
	v_add_co_u32_e32 v5, vcc, 64, v5
	v_addc_co_u32_e32 v6, vcc, 0, v6, vcc
	v_cmp_ge_i64_e64 s[0:1], v[5:6], v[1:2]
	v_add_co_u32_e32 v11, vcc, 0x100, v11
	v_addc_co_u32_e32 v12, vcc, 0, v12, vcc
	s_orn2_b64 s[0:1], s[0:1], exec
	s_branch .LBB8_12
.LBB8_19:                               ;   in Loop: Header=BB8_10 Depth=1
	s_or_b64 exec, exec, s[16:17]
.LBB8_20:                               ;   in Loop: Header=BB8_10 Depth=1
	s_or_b64 exec, exec, s[14:15]
	v_cmp_lt_i64_e32 vcc, v[7:8], v[3:4]
	s_and_saveexec_b64 s[14:15], vcc
	s_cbranch_execz .LBB8_9
; %bb.21:                               ;   in Loop: Header=BB8_10 Depth=1
	v_lshlrev_b64 v[11:12], 2, v[7:8]
	v_mov_b32_e32 v25, s9
	v_add_co_u32_e32 v11, vcc, s8, v11
	v_addc_co_u32_e32 v12, vcc, v25, v12, vcc
	s_mov_b64 s[16:17], 0
	s_branch .LBB8_23
.LBB8_22:                               ;   in Loop: Header=BB8_23 Depth=2
	s_or_b64 exec, exec, s[18:19]
	s_and_b64 s[0:1], exec, s[0:1]
	s_or_b64 s[16:17], s[0:1], s[16:17]
	s_andn2_b64 exec, exec, s[16:17]
	s_cbranch_execz .LBB8_8
.LBB8_23:                               ;   Parent Loop BB8_10 Depth=1
                                        ; =>  This Inner Loop Header: Depth=2
	global_load_dword v25, v[11:12], off
	s_waitcnt vmcnt(0)
	v_subrev_u32_e32 v26, s7, v25
	v_sub_u32_e32 v25, v26, v10
	v_cmp_gt_u32_e32 vcc, 64, v25
	v_cmp_lt_u32_e64 s[0:1], 63, v25
	s_and_saveexec_b64 s[18:19], s[0:1]
	s_xor_b64 s[0:1], exec, s[18:19]
	s_cbranch_execnz .LBB8_26
; %bb.24:                               ;   in Loop: Header=BB8_23 Depth=2
	s_andn2_saveexec_b64 s[0:1], s[0:1]
	s_cbranch_execnz .LBB8_27
.LBB8_25:                               ;   in Loop: Header=BB8_23 Depth=2
	s_or_b64 exec, exec, s[0:1]
	s_mov_b64 s[0:1], -1
	s_and_saveexec_b64 s[18:19], vcc
	s_cbranch_execz .LBB8_22
	s_branch .LBB8_28
.LBB8_26:                               ;   in Loop: Header=BB8_23 Depth=2
	v_min_i32_e32 v24, v26, v24
                                        ; implicit-def: $vgpr25
	s_andn2_saveexec_b64 s[0:1], s[0:1]
	s_cbranch_execz .LBB8_25
.LBB8_27:                               ;   in Loop: Header=BB8_23 Depth=2
	v_add_u32_e32 v25, v16, v25
	ds_write_b8 v25, v22
	s_or_b64 exec, exec, s[0:1]
	s_mov_b64 s[0:1], -1
	s_and_saveexec_b64 s[18:19], vcc
	s_cbranch_execz .LBB8_22
.LBB8_28:                               ;   in Loop: Header=BB8_23 Depth=2
	v_add_co_u32_e32 v7, vcc, 64, v7
	v_addc_co_u32_e32 v8, vcc, 0, v8, vcc
	v_cmp_ge_i64_e64 s[0:1], v[7:8], v[3:4]
	v_add_co_u32_e32 v11, vcc, 0x100, v11
	v_addc_co_u32_e32 v12, vcc, 0, v12, vcc
	s_orn2_b64 s[0:1], s[0:1], exec
	s_branch .LBB8_22
.LBB8_29:
	s_or_b64 exec, exec, s[12:13]
	v_cmp_eq_u32_e32 vcc, 63, v0
	s_and_b64 exec, exec, vcc
	s_cbranch_execz .LBB8_31
; %bb.30:
	v_lshlrev_b32_e32 v0, 2, v9
	global_store_dword v0, v11, s[4:5]
.LBB8_31:
	s_endpgm
	.section	.rodata,"a",@progbits
	.p2align	6, 0x0
	.amdhsa_kernel _ZN9rocsparseL28csrgeam_nnz_multipass_deviceILj256ELj64EliiEEvllPKT1_PKT2_S3_S6_PT3_21rocsparse_index_base_S9_
		.amdhsa_group_segment_fixed_size 256
		.amdhsa_private_segment_fixed_size 0
		.amdhsa_kernarg_size 64
		.amdhsa_user_sgpr_count 6
		.amdhsa_user_sgpr_private_segment_buffer 1
		.amdhsa_user_sgpr_dispatch_ptr 0
		.amdhsa_user_sgpr_queue_ptr 0
		.amdhsa_user_sgpr_kernarg_segment_ptr 1
		.amdhsa_user_sgpr_dispatch_id 0
		.amdhsa_user_sgpr_flat_scratch_init 0
		.amdhsa_user_sgpr_private_segment_size 0
		.amdhsa_uses_dynamic_stack 0
		.amdhsa_system_sgpr_private_segment_wavefront_offset 0
		.amdhsa_system_sgpr_workgroup_id_x 1
		.amdhsa_system_sgpr_workgroup_id_y 0
		.amdhsa_system_sgpr_workgroup_id_z 0
		.amdhsa_system_sgpr_workgroup_info 0
		.amdhsa_system_vgpr_workitem_id 0
		.amdhsa_next_free_vgpr 27
		.amdhsa_next_free_sgpr 21
		.amdhsa_reserve_vcc 1
		.amdhsa_reserve_flat_scratch 0
		.amdhsa_float_round_mode_32 0
		.amdhsa_float_round_mode_16_64 0
		.amdhsa_float_denorm_mode_32 3
		.amdhsa_float_denorm_mode_16_64 3
		.amdhsa_dx10_clamp 1
		.amdhsa_ieee_mode 1
		.amdhsa_fp16_overflow 0
		.amdhsa_exception_fp_ieee_invalid_op 0
		.amdhsa_exception_fp_denorm_src 0
		.amdhsa_exception_fp_ieee_div_zero 0
		.amdhsa_exception_fp_ieee_overflow 0
		.amdhsa_exception_fp_ieee_underflow 0
		.amdhsa_exception_fp_ieee_inexact 0
		.amdhsa_exception_int_div_zero 0
	.end_amdhsa_kernel
	.section	.text._ZN9rocsparseL28csrgeam_nnz_multipass_deviceILj256ELj64EliiEEvllPKT1_PKT2_S3_S6_PT3_21rocsparse_index_base_S9_,"axG",@progbits,_ZN9rocsparseL28csrgeam_nnz_multipass_deviceILj256ELj64EliiEEvllPKT1_PKT2_S3_S6_PT3_21rocsparse_index_base_S9_,comdat
.Lfunc_end8:
	.size	_ZN9rocsparseL28csrgeam_nnz_multipass_deviceILj256ELj64EliiEEvllPKT1_PKT2_S3_S6_PT3_21rocsparse_index_base_S9_, .Lfunc_end8-_ZN9rocsparseL28csrgeam_nnz_multipass_deviceILj256ELj64EliiEEvllPKT1_PKT2_S3_S6_PT3_21rocsparse_index_base_S9_
                                        ; -- End function
	.set _ZN9rocsparseL28csrgeam_nnz_multipass_deviceILj256ELj64EliiEEvllPKT1_PKT2_S3_S6_PT3_21rocsparse_index_base_S9_.num_vgpr, 27
	.set _ZN9rocsparseL28csrgeam_nnz_multipass_deviceILj256ELj64EliiEEvllPKT1_PKT2_S3_S6_PT3_21rocsparse_index_base_S9_.num_agpr, 0
	.set _ZN9rocsparseL28csrgeam_nnz_multipass_deviceILj256ELj64EliiEEvllPKT1_PKT2_S3_S6_PT3_21rocsparse_index_base_S9_.numbered_sgpr, 21
	.set _ZN9rocsparseL28csrgeam_nnz_multipass_deviceILj256ELj64EliiEEvllPKT1_PKT2_S3_S6_PT3_21rocsparse_index_base_S9_.num_named_barrier, 0
	.set _ZN9rocsparseL28csrgeam_nnz_multipass_deviceILj256ELj64EliiEEvllPKT1_PKT2_S3_S6_PT3_21rocsparse_index_base_S9_.private_seg_size, 0
	.set _ZN9rocsparseL28csrgeam_nnz_multipass_deviceILj256ELj64EliiEEvllPKT1_PKT2_S3_S6_PT3_21rocsparse_index_base_S9_.uses_vcc, 1
	.set _ZN9rocsparseL28csrgeam_nnz_multipass_deviceILj256ELj64EliiEEvllPKT1_PKT2_S3_S6_PT3_21rocsparse_index_base_S9_.uses_flat_scratch, 0
	.set _ZN9rocsparseL28csrgeam_nnz_multipass_deviceILj256ELj64EliiEEvllPKT1_PKT2_S3_S6_PT3_21rocsparse_index_base_S9_.has_dyn_sized_stack, 0
	.set _ZN9rocsparseL28csrgeam_nnz_multipass_deviceILj256ELj64EliiEEvllPKT1_PKT2_S3_S6_PT3_21rocsparse_index_base_S9_.has_recursion, 0
	.set _ZN9rocsparseL28csrgeam_nnz_multipass_deviceILj256ELj64EliiEEvllPKT1_PKT2_S3_S6_PT3_21rocsparse_index_base_S9_.has_indirect_call, 0
	.section	.AMDGPU.csdata,"",@progbits
; Kernel info:
; codeLenInByte = 1116
; TotalNumSgprs: 25
; NumVgprs: 27
; ScratchSize: 0
; MemoryBound: 0
; FloatMode: 240
; IeeeMode: 1
; LDSByteSize: 256 bytes/workgroup (compile time only)
; SGPRBlocks: 3
; VGPRBlocks: 6
; NumSGPRsForWavesPerEU: 25
; NumVGPRsForWavesPerEU: 27
; Occupancy: 9
; WaveLimiterHint : 1
; COMPUTE_PGM_RSRC2:SCRATCH_EN: 0
; COMPUTE_PGM_RSRC2:USER_SGPR: 6
; COMPUTE_PGM_RSRC2:TRAP_HANDLER: 0
; COMPUTE_PGM_RSRC2:TGID_X_EN: 1
; COMPUTE_PGM_RSRC2:TGID_Y_EN: 0
; COMPUTE_PGM_RSRC2:TGID_Z_EN: 0
; COMPUTE_PGM_RSRC2:TIDIG_COMP_CNT: 0
	.section	.text._ZN9rocsparseL28csrgeam_nnz_multipass_deviceILj256ELj64ElilEEvllPKT1_PKT2_S3_S6_PT3_21rocsparse_index_base_S9_,"axG",@progbits,_ZN9rocsparseL28csrgeam_nnz_multipass_deviceILj256ELj64ElilEEvllPKT1_PKT2_S3_S6_PT3_21rocsparse_index_base_S9_,comdat
	.globl	_ZN9rocsparseL28csrgeam_nnz_multipass_deviceILj256ELj64ElilEEvllPKT1_PKT2_S3_S6_PT3_21rocsparse_index_base_S9_ ; -- Begin function _ZN9rocsparseL28csrgeam_nnz_multipass_deviceILj256ELj64ElilEEvllPKT1_PKT2_S3_S6_PT3_21rocsparse_index_base_S9_
	.p2align	8
	.type	_ZN9rocsparseL28csrgeam_nnz_multipass_deviceILj256ELj64ElilEEvllPKT1_PKT2_S3_S6_PT3_21rocsparse_index_base_S9_,@function
_ZN9rocsparseL28csrgeam_nnz_multipass_deviceILj256ELj64ElilEEvllPKT1_PKT2_S3_S6_PT3_21rocsparse_index_base_S9_: ; @_ZN9rocsparseL28csrgeam_nnz_multipass_deviceILj256ELj64ElilEEvllPKT1_PKT2_S3_S6_PT3_21rocsparse_index_base_S9_
; %bb.0:
	s_load_dwordx4 s[0:3], s[4:5], 0x0
	s_lshl_b32 s6, s6, 2
	v_lshrrev_b32_e32 v1, 6, v0
	s_and_b32 s6, s6, 0x3fffffc
	v_or_b32_e32 v1, s6, v1
	v_mov_b32_e32 v2, 0
	s_waitcnt lgkmcnt(0)
	v_cmp_gt_i64_e32 vcc, s[0:1], v[1:2]
	s_and_saveexec_b64 s[0:1], vcc
	s_cbranch_execz .LBB9_31
; %bb.1:
	s_load_dwordx4 s[8:11], s[4:5], 0x10
	s_load_dwordx2 s[0:1], s[4:5], 0x20
	v_lshlrev_b32_e32 v14, 3, v1
	s_load_dwordx2 s[6:7], s[4:5], 0x38
	s_waitcnt lgkmcnt(0)
	global_load_dwordx4 v[1:4], v14, s[8:9]
	global_load_dwordx4 v[5:8], v14, s[0:1]
	s_waitcnt vmcnt(1)
	v_cmp_ge_i64_e32 vcc, v[1:2], v[3:4]
	v_subrev_co_u32_e64 v10, s[0:1], s6, v1
	v_subbrev_co_u32_e64 v11, s[0:1], 0, v2, s[0:1]
	s_and_saveexec_b64 s[0:1], vcc
	s_xor_b64 s[0:1], exec, s[0:1]
	s_or_saveexec_b64 s[0:1], s[0:1]
	v_mov_b32_e32 v9, s2
	s_xor_b64 exec, exec, s[0:1]
	s_cbranch_execz .LBB9_3
; %bb.2:
	v_lshlrev_b64 v[1:2], 2, v[10:11]
	v_mov_b32_e32 v9, s11
	v_add_co_u32_e32 v1, vcc, s10, v1
	v_addc_co_u32_e32 v2, vcc, v9, v2, vcc
	global_load_dword v1, v[1:2], off
	s_waitcnt vmcnt(0)
	v_subrev_u32_e32 v9, s6, v1
.LBB9_3:
	s_or_b64 exec, exec, s[0:1]
	s_load_dwordx2 s[8:9], s[4:5], 0x28
	s_waitcnt vmcnt(0)
	v_subrev_co_u32_e32 v12, vcc, s7, v5
	v_subbrev_co_u32_e32 v13, vcc, 0, v6, vcc
	v_cmp_ge_i64_e32 vcc, v[5:6], v[7:8]
	s_mov_b32 s12, s7
	v_mov_b32_e32 v15, s2
	s_and_saveexec_b64 s[0:1], vcc
	s_xor_b64 s[0:1], exec, s[0:1]
; %bb.4:
	v_mov_b32_e32 v15, s2
; %bb.5:
	s_or_saveexec_b64 s[0:1], s[0:1]
	s_load_dwordx2 s[4:5], s[4:5], 0x30
	v_mov_b32_e32 v5, v15
	s_xor_b64 exec, exec, s[0:1]
	s_cbranch_execz .LBB9_7
; %bb.6:
	v_lshlrev_b64 v[1:2], 2, v[12:13]
	s_waitcnt lgkmcnt(0)
	v_mov_b32_e32 v5, s9
	v_add_co_u32_e32 v1, vcc, s8, v1
	v_addc_co_u32_e32 v2, vcc, v5, v2, vcc
	global_load_dword v1, v[1:2], off
	s_waitcnt vmcnt(0)
	v_subrev_u32_e32 v5, s7, v1
.LBB9_7:
	s_or_b64 exec, exec, s[0:1]
	v_subrev_co_u32_e32 v1, vcc, s6, v3
	v_subbrev_co_u32_e32 v2, vcc, 0, v4, vcc
	v_subrev_co_u32_e32 v3, vcc, s12, v7
	v_and_b32_e32 v16, 0xc0, v0
	v_subbrev_co_u32_e32 v4, vcc, 0, v8, vcc
	v_and_b32_e32 v0, 63, v0
	v_min_i32_e32 v9, v5, v9
	v_add_co_u32_e32 v5, vcc, v10, v0
	v_mbcnt_lo_u32_b32 v10, -1, 0
	v_addc_co_u32_e32 v6, vcc, 0, v11, vcc
	v_mbcnt_hi_u32_b32 v10, -1, v10
	v_add_co_u32_e32 v7, vcc, v12, v0
	v_and_b32_e32 v11, 64, v10
	v_addc_co_u32_e32 v8, vcc, 0, v13, vcc
	v_add_u32_e32 v11, 64, v11
	v_xor_b32_e32 v13, 32, v10
	v_xor_b32_e32 v17, 16, v10
	v_cmp_lt_i32_e32 vcc, v13, v11
	v_xor_b32_e32 v18, 8, v10
	v_cndmask_b32_e32 v13, v10, v13, vcc
	v_cmp_lt_i32_e32 vcc, v17, v11
	v_xor_b32_e32 v19, 4, v10
	v_cndmask_b32_e32 v17, v10, v17, vcc
	;; [unrolled: 3-line block ×4, first 2 shown]
	v_cmp_lt_i32_e32 vcc, v20, v11
	v_cndmask_b32_e32 v20, v10, v20, vcc
	v_cmp_lt_i32_e32 vcc, v21, v11
	v_cndmask_b32_e32 v10, v10, v21, vcc
	v_mov_b32_e32 v12, 0
	v_lshlrev_b32_e32 v13, 2, v13
	v_lshlrev_b32_e32 v17, 2, v17
	v_lshlrev_b32_e32 v18, 2, v18
	v_lshlrev_b32_e32 v19, 2, v19
	v_lshlrev_b32_e32 v20, 2, v20
	v_lshlrev_b32_e32 v21, 2, v10
	s_mov_b64 s[12:13], 0
	v_mov_b32_e32 v22, 1
	s_mov_b64 s[14:15], 0
	s_branch .LBB9_10
.LBB9_8:                                ;   in Loop: Header=BB9_10 Depth=1
	s_or_b64 exec, exec, s[18:19]
.LBB9_9:                                ;   in Loop: Header=BB9_10 Depth=1
	s_or_b64 exec, exec, s[16:17]
	ds_bpermute_b32 v9, v13, v24
	s_waitcnt lgkmcnt(0)
	ds_read_u8 v11, v23
	v_min_i32_e32 v9, v9, v24
	ds_bpermute_b32 v10, v17, v9
	s_waitcnt lgkmcnt(1)
	v_cmp_ne_u16_e32 vcc, 0, v11
	s_bcnt1_i32_b64 s0, vcc
	s_add_u32 s14, s0, s14
	s_addc_u32 s15, 0, s15
	s_waitcnt lgkmcnt(0)
	v_min_i32_e32 v9, v10, v9
	ds_bpermute_b32 v10, v18, v9
	s_waitcnt lgkmcnt(0)
	v_min_i32_e32 v9, v10, v9
	ds_bpermute_b32 v10, v19, v9
	s_waitcnt lgkmcnt(0)
	v_min_i32_e32 v9, v10, v9
	ds_bpermute_b32 v10, v20, v9
	s_waitcnt lgkmcnt(0)
	v_min_i32_e32 v9, v10, v9
	ds_bpermute_b32 v10, v21, v9
	s_waitcnt lgkmcnt(0)
	v_min_i32_e32 v9, v10, v9
	v_ashrrev_i32_e32 v10, 31, v9
	v_cmp_le_i64_e32 vcc, s[2:3], v[9:10]
	v_mov_b32_e32 v10, s14
	s_or_b64 s[12:13], vcc, s[12:13]
	v_mov_b32_e32 v11, s15
	s_andn2_b64 exec, exec, s[12:13]
	s_cbranch_execz .LBB9_29
.LBB9_10:                               ; =>This Loop Header: Depth=1
                                        ;     Child Loop BB9_13 Depth 2
                                        ;     Child Loop BB9_23 Depth 2
	v_cmp_lt_i64_e32 vcc, v[5:6], v[1:2]
	v_add_u32_e32 v23, v16, v0
	v_mov_b32_e32 v24, v15
	ds_write_b8 v23, v12
	s_waitcnt lgkmcnt(0)
	s_and_saveexec_b64 s[16:17], vcc
	s_cbranch_execz .LBB9_20
; %bb.11:                               ;   in Loop: Header=BB9_10 Depth=1
	v_lshlrev_b64 v[10:11], 2, v[5:6]
	v_mov_b32_e32 v24, s11
	v_add_co_u32_e32 v10, vcc, s10, v10
	v_addc_co_u32_e32 v11, vcc, v24, v11, vcc
	s_mov_b64 s[18:19], 0
	v_mov_b32_e32 v24, v15
	s_branch .LBB9_13
.LBB9_12:                               ;   in Loop: Header=BB9_13 Depth=2
	s_or_b64 exec, exec, s[20:21]
	s_and_b64 s[0:1], exec, s[0:1]
	s_or_b64 s[18:19], s[0:1], s[18:19]
	s_andn2_b64 exec, exec, s[18:19]
	s_cbranch_execz .LBB9_19
.LBB9_13:                               ;   Parent Loop BB9_10 Depth=1
                                        ; =>  This Inner Loop Header: Depth=2
	global_load_dword v25, v[10:11], off
	s_waitcnt vmcnt(0)
	v_subrev_u32_e32 v26, s6, v25
	v_sub_u32_e32 v25, v26, v9
	v_cmp_gt_u32_e32 vcc, 64, v25
	v_cmp_lt_u32_e64 s[0:1], 63, v25
	s_and_saveexec_b64 s[20:21], s[0:1]
	s_xor_b64 s[0:1], exec, s[20:21]
	s_cbranch_execnz .LBB9_16
; %bb.14:                               ;   in Loop: Header=BB9_13 Depth=2
	s_andn2_saveexec_b64 s[0:1], s[0:1]
	s_cbranch_execnz .LBB9_17
.LBB9_15:                               ;   in Loop: Header=BB9_13 Depth=2
	s_or_b64 exec, exec, s[0:1]
	s_mov_b64 s[0:1], -1
	s_and_saveexec_b64 s[20:21], vcc
	s_cbranch_execz .LBB9_12
	s_branch .LBB9_18
.LBB9_16:                               ;   in Loop: Header=BB9_13 Depth=2
	v_min_i32_e32 v24, v26, v24
                                        ; implicit-def: $vgpr25
	s_andn2_saveexec_b64 s[0:1], s[0:1]
	s_cbranch_execz .LBB9_15
.LBB9_17:                               ;   in Loop: Header=BB9_13 Depth=2
	v_add_u32_e32 v25, v16, v25
	ds_write_b8 v25, v22
	s_or_b64 exec, exec, s[0:1]
	s_mov_b64 s[0:1], -1
	s_and_saveexec_b64 s[20:21], vcc
	s_cbranch_execz .LBB9_12
.LBB9_18:                               ;   in Loop: Header=BB9_13 Depth=2
	v_add_co_u32_e32 v5, vcc, 64, v5
	v_addc_co_u32_e32 v6, vcc, 0, v6, vcc
	v_cmp_ge_i64_e64 s[0:1], v[5:6], v[1:2]
	v_add_co_u32_e32 v10, vcc, 0x100, v10
	v_addc_co_u32_e32 v11, vcc, 0, v11, vcc
	s_orn2_b64 s[0:1], s[0:1], exec
	s_branch .LBB9_12
.LBB9_19:                               ;   in Loop: Header=BB9_10 Depth=1
	s_or_b64 exec, exec, s[18:19]
.LBB9_20:                               ;   in Loop: Header=BB9_10 Depth=1
	s_or_b64 exec, exec, s[16:17]
	v_cmp_lt_i64_e32 vcc, v[7:8], v[3:4]
	s_and_saveexec_b64 s[16:17], vcc
	s_cbranch_execz .LBB9_9
; %bb.21:                               ;   in Loop: Header=BB9_10 Depth=1
	v_lshlrev_b64 v[10:11], 2, v[7:8]
	v_mov_b32_e32 v25, s9
	v_add_co_u32_e32 v10, vcc, s8, v10
	v_addc_co_u32_e32 v11, vcc, v25, v11, vcc
	s_mov_b64 s[18:19], 0
	s_branch .LBB9_23
.LBB9_22:                               ;   in Loop: Header=BB9_23 Depth=2
	s_or_b64 exec, exec, s[20:21]
	s_and_b64 s[0:1], exec, s[0:1]
	s_or_b64 s[18:19], s[0:1], s[18:19]
	s_andn2_b64 exec, exec, s[18:19]
	s_cbranch_execz .LBB9_8
.LBB9_23:                               ;   Parent Loop BB9_10 Depth=1
                                        ; =>  This Inner Loop Header: Depth=2
	global_load_dword v25, v[10:11], off
	s_waitcnt vmcnt(0)
	v_subrev_u32_e32 v26, s7, v25
	v_sub_u32_e32 v25, v26, v9
	v_cmp_gt_u32_e32 vcc, 64, v25
	v_cmp_lt_u32_e64 s[0:1], 63, v25
	s_and_saveexec_b64 s[20:21], s[0:1]
	s_xor_b64 s[0:1], exec, s[20:21]
	s_cbranch_execnz .LBB9_26
; %bb.24:                               ;   in Loop: Header=BB9_23 Depth=2
	s_andn2_saveexec_b64 s[0:1], s[0:1]
	s_cbranch_execnz .LBB9_27
.LBB9_25:                               ;   in Loop: Header=BB9_23 Depth=2
	s_or_b64 exec, exec, s[0:1]
	s_mov_b64 s[0:1], -1
	s_and_saveexec_b64 s[20:21], vcc
	s_cbranch_execz .LBB9_22
	s_branch .LBB9_28
.LBB9_26:                               ;   in Loop: Header=BB9_23 Depth=2
	v_min_i32_e32 v24, v26, v24
                                        ; implicit-def: $vgpr25
	s_andn2_saveexec_b64 s[0:1], s[0:1]
	s_cbranch_execz .LBB9_25
.LBB9_27:                               ;   in Loop: Header=BB9_23 Depth=2
	v_add_u32_e32 v25, v16, v25
	ds_write_b8 v25, v22
	s_or_b64 exec, exec, s[0:1]
	s_mov_b64 s[0:1], -1
	s_and_saveexec_b64 s[20:21], vcc
	s_cbranch_execz .LBB9_22
.LBB9_28:                               ;   in Loop: Header=BB9_23 Depth=2
	v_add_co_u32_e32 v7, vcc, 64, v7
	v_addc_co_u32_e32 v8, vcc, 0, v8, vcc
	v_cmp_ge_i64_e64 s[0:1], v[7:8], v[3:4]
	v_add_co_u32_e32 v10, vcc, 0x100, v10
	v_addc_co_u32_e32 v11, vcc, 0, v11, vcc
	s_orn2_b64 s[0:1], s[0:1], exec
	s_branch .LBB9_22
.LBB9_29:
	s_or_b64 exec, exec, s[12:13]
	v_cmp_eq_u32_e32 vcc, 63, v0
	s_and_b64 exec, exec, vcc
	s_cbranch_execz .LBB9_31
; %bb.30:
	global_store_dwordx2 v14, v[10:11], s[4:5]
.LBB9_31:
	s_endpgm
	.section	.rodata,"a",@progbits
	.p2align	6, 0x0
	.amdhsa_kernel _ZN9rocsparseL28csrgeam_nnz_multipass_deviceILj256ELj64ElilEEvllPKT1_PKT2_S3_S6_PT3_21rocsparse_index_base_S9_
		.amdhsa_group_segment_fixed_size 256
		.amdhsa_private_segment_fixed_size 0
		.amdhsa_kernarg_size 64
		.amdhsa_user_sgpr_count 6
		.amdhsa_user_sgpr_private_segment_buffer 1
		.amdhsa_user_sgpr_dispatch_ptr 0
		.amdhsa_user_sgpr_queue_ptr 0
		.amdhsa_user_sgpr_kernarg_segment_ptr 1
		.amdhsa_user_sgpr_dispatch_id 0
		.amdhsa_user_sgpr_flat_scratch_init 0
		.amdhsa_user_sgpr_private_segment_size 0
		.amdhsa_uses_dynamic_stack 0
		.amdhsa_system_sgpr_private_segment_wavefront_offset 0
		.amdhsa_system_sgpr_workgroup_id_x 1
		.amdhsa_system_sgpr_workgroup_id_y 0
		.amdhsa_system_sgpr_workgroup_id_z 0
		.amdhsa_system_sgpr_workgroup_info 0
		.amdhsa_system_vgpr_workitem_id 0
		.amdhsa_next_free_vgpr 27
		.amdhsa_next_free_sgpr 22
		.amdhsa_reserve_vcc 1
		.amdhsa_reserve_flat_scratch 0
		.amdhsa_float_round_mode_32 0
		.amdhsa_float_round_mode_16_64 0
		.amdhsa_float_denorm_mode_32 3
		.amdhsa_float_denorm_mode_16_64 3
		.amdhsa_dx10_clamp 1
		.amdhsa_ieee_mode 1
		.amdhsa_fp16_overflow 0
		.amdhsa_exception_fp_ieee_invalid_op 0
		.amdhsa_exception_fp_denorm_src 0
		.amdhsa_exception_fp_ieee_div_zero 0
		.amdhsa_exception_fp_ieee_overflow 0
		.amdhsa_exception_fp_ieee_underflow 0
		.amdhsa_exception_fp_ieee_inexact 0
		.amdhsa_exception_int_div_zero 0
	.end_amdhsa_kernel
	.section	.text._ZN9rocsparseL28csrgeam_nnz_multipass_deviceILj256ELj64ElilEEvllPKT1_PKT2_S3_S6_PT3_21rocsparse_index_base_S9_,"axG",@progbits,_ZN9rocsparseL28csrgeam_nnz_multipass_deviceILj256ELj64ElilEEvllPKT1_PKT2_S3_S6_PT3_21rocsparse_index_base_S9_,comdat
.Lfunc_end9:
	.size	_ZN9rocsparseL28csrgeam_nnz_multipass_deviceILj256ELj64ElilEEvllPKT1_PKT2_S3_S6_PT3_21rocsparse_index_base_S9_, .Lfunc_end9-_ZN9rocsparseL28csrgeam_nnz_multipass_deviceILj256ELj64ElilEEvllPKT1_PKT2_S3_S6_PT3_21rocsparse_index_base_S9_
                                        ; -- End function
	.set _ZN9rocsparseL28csrgeam_nnz_multipass_deviceILj256ELj64ElilEEvllPKT1_PKT2_S3_S6_PT3_21rocsparse_index_base_S9_.num_vgpr, 27
	.set _ZN9rocsparseL28csrgeam_nnz_multipass_deviceILj256ELj64ElilEEvllPKT1_PKT2_S3_S6_PT3_21rocsparse_index_base_S9_.num_agpr, 0
	.set _ZN9rocsparseL28csrgeam_nnz_multipass_deviceILj256ELj64ElilEEvllPKT1_PKT2_S3_S6_PT3_21rocsparse_index_base_S9_.numbered_sgpr, 22
	.set _ZN9rocsparseL28csrgeam_nnz_multipass_deviceILj256ELj64ElilEEvllPKT1_PKT2_S3_S6_PT3_21rocsparse_index_base_S9_.num_named_barrier, 0
	.set _ZN9rocsparseL28csrgeam_nnz_multipass_deviceILj256ELj64ElilEEvllPKT1_PKT2_S3_S6_PT3_21rocsparse_index_base_S9_.private_seg_size, 0
	.set _ZN9rocsparseL28csrgeam_nnz_multipass_deviceILj256ELj64ElilEEvllPKT1_PKT2_S3_S6_PT3_21rocsparse_index_base_S9_.uses_vcc, 1
	.set _ZN9rocsparseL28csrgeam_nnz_multipass_deviceILj256ELj64ElilEEvllPKT1_PKT2_S3_S6_PT3_21rocsparse_index_base_S9_.uses_flat_scratch, 0
	.set _ZN9rocsparseL28csrgeam_nnz_multipass_deviceILj256ELj64ElilEEvllPKT1_PKT2_S3_S6_PT3_21rocsparse_index_base_S9_.has_dyn_sized_stack, 0
	.set _ZN9rocsparseL28csrgeam_nnz_multipass_deviceILj256ELj64ElilEEvllPKT1_PKT2_S3_S6_PT3_21rocsparse_index_base_S9_.has_recursion, 0
	.set _ZN9rocsparseL28csrgeam_nnz_multipass_deviceILj256ELj64ElilEEvllPKT1_PKT2_S3_S6_PT3_21rocsparse_index_base_S9_.has_indirect_call, 0
	.section	.AMDGPU.csdata,"",@progbits
; Kernel info:
; codeLenInByte = 1120
; TotalNumSgprs: 26
; NumVgprs: 27
; ScratchSize: 0
; MemoryBound: 0
; FloatMode: 240
; IeeeMode: 1
; LDSByteSize: 256 bytes/workgroup (compile time only)
; SGPRBlocks: 3
; VGPRBlocks: 6
; NumSGPRsForWavesPerEU: 26
; NumVGPRsForWavesPerEU: 27
; Occupancy: 9
; WaveLimiterHint : 1
; COMPUTE_PGM_RSRC2:SCRATCH_EN: 0
; COMPUTE_PGM_RSRC2:USER_SGPR: 6
; COMPUTE_PGM_RSRC2:TRAP_HANDLER: 0
; COMPUTE_PGM_RSRC2:TGID_X_EN: 1
; COMPUTE_PGM_RSRC2:TGID_Y_EN: 0
; COMPUTE_PGM_RSRC2:TGID_Z_EN: 0
; COMPUTE_PGM_RSRC2:TIDIG_COMP_CNT: 0
	.section	.text._ZN9rocsparseL21csrgeam_check_row_ptrILj256EllEEvT1_PT0_21rocsparse_index_base_,"axG",@progbits,_ZN9rocsparseL21csrgeam_check_row_ptrILj256EllEEvT1_PT0_21rocsparse_index_base_,comdat
	.globl	_ZN9rocsparseL21csrgeam_check_row_ptrILj256EllEEvT1_PT0_21rocsparse_index_base_ ; -- Begin function _ZN9rocsparseL21csrgeam_check_row_ptrILj256EllEEvT1_PT0_21rocsparse_index_base_
	.p2align	8
	.type	_ZN9rocsparseL21csrgeam_check_row_ptrILj256EllEEvT1_PT0_21rocsparse_index_base_,@function
_ZN9rocsparseL21csrgeam_check_row_ptrILj256EllEEvT1_PT0_21rocsparse_index_base_: ; @_ZN9rocsparseL21csrgeam_check_row_ptrILj256EllEEvT1_PT0_21rocsparse_index_base_
; %bb.0:
	s_load_dwordx2 s[0:1], s[4:5], 0x0
	v_lshl_or_b32 v0, s6, 8, v0
	v_mov_b32_e32 v1, 0
	s_waitcnt lgkmcnt(0)
	v_cmp_ge_i64_e32 vcc, s[0:1], v[0:1]
	s_and_saveexec_b64 s[2:3], vcc
	s_cbranch_execz .LBB10_3
; %bb.1:
	s_load_dwordx2 s[2:3], s[4:5], 0x8
	s_load_dword s6, s[4:5], 0x10
	v_lshlrev_b64 v[0:1], 3, v[0:1]
	s_mov_b32 s7, 0
	s_waitcnt lgkmcnt(0)
	v_mov_b32_e32 v2, s3
	v_add_co_u32_e32 v0, vcc, s2, v0
	v_addc_co_u32_e32 v1, vcc, v2, v1, vcc
	global_load_dwordx2 v[0:1], v[0:1], off
	s_waitcnt vmcnt(0)
	v_cmp_gt_i64_e32 vcc, s[6:7], v[0:1]
	s_and_b64 exec, exec, vcc
	s_cbranch_execz .LBB10_3
; %bb.2:
	s_lshl_b64 s[0:1], s[0:1], 3
	s_add_u32 s0, s2, s0
	v_mov_b32_e32 v0, -1
	s_addc_u32 s1, s3, s1
	v_mov_b32_e32 v2, 0
	v_mov_b32_e32 v1, v0
	global_store_dwordx2 v2, v[0:1], s[0:1]
.LBB10_3:
	s_endpgm
	.section	.rodata,"a",@progbits
	.p2align	6, 0x0
	.amdhsa_kernel _ZN9rocsparseL21csrgeam_check_row_ptrILj256EllEEvT1_PT0_21rocsparse_index_base_
		.amdhsa_group_segment_fixed_size 0
		.amdhsa_private_segment_fixed_size 0
		.amdhsa_kernarg_size 20
		.amdhsa_user_sgpr_count 6
		.amdhsa_user_sgpr_private_segment_buffer 1
		.amdhsa_user_sgpr_dispatch_ptr 0
		.amdhsa_user_sgpr_queue_ptr 0
		.amdhsa_user_sgpr_kernarg_segment_ptr 1
		.amdhsa_user_sgpr_dispatch_id 0
		.amdhsa_user_sgpr_flat_scratch_init 0
		.amdhsa_user_sgpr_private_segment_size 0
		.amdhsa_uses_dynamic_stack 0
		.amdhsa_system_sgpr_private_segment_wavefront_offset 0
		.amdhsa_system_sgpr_workgroup_id_x 1
		.amdhsa_system_sgpr_workgroup_id_y 0
		.amdhsa_system_sgpr_workgroup_id_z 0
		.amdhsa_system_sgpr_workgroup_info 0
		.amdhsa_system_vgpr_workitem_id 0
		.amdhsa_next_free_vgpr 3
		.amdhsa_next_free_sgpr 8
		.amdhsa_reserve_vcc 1
		.amdhsa_reserve_flat_scratch 0
		.amdhsa_float_round_mode_32 0
		.amdhsa_float_round_mode_16_64 0
		.amdhsa_float_denorm_mode_32 3
		.amdhsa_float_denorm_mode_16_64 3
		.amdhsa_dx10_clamp 1
		.amdhsa_ieee_mode 1
		.amdhsa_fp16_overflow 0
		.amdhsa_exception_fp_ieee_invalid_op 0
		.amdhsa_exception_fp_denorm_src 0
		.amdhsa_exception_fp_ieee_div_zero 0
		.amdhsa_exception_fp_ieee_overflow 0
		.amdhsa_exception_fp_ieee_underflow 0
		.amdhsa_exception_fp_ieee_inexact 0
		.amdhsa_exception_int_div_zero 0
	.end_amdhsa_kernel
	.section	.text._ZN9rocsparseL21csrgeam_check_row_ptrILj256EllEEvT1_PT0_21rocsparse_index_base_,"axG",@progbits,_ZN9rocsparseL21csrgeam_check_row_ptrILj256EllEEvT1_PT0_21rocsparse_index_base_,comdat
.Lfunc_end10:
	.size	_ZN9rocsparseL21csrgeam_check_row_ptrILj256EllEEvT1_PT0_21rocsparse_index_base_, .Lfunc_end10-_ZN9rocsparseL21csrgeam_check_row_ptrILj256EllEEvT1_PT0_21rocsparse_index_base_
                                        ; -- End function
	.set _ZN9rocsparseL21csrgeam_check_row_ptrILj256EllEEvT1_PT0_21rocsparse_index_base_.num_vgpr, 3
	.set _ZN9rocsparseL21csrgeam_check_row_ptrILj256EllEEvT1_PT0_21rocsparse_index_base_.num_agpr, 0
	.set _ZN9rocsparseL21csrgeam_check_row_ptrILj256EllEEvT1_PT0_21rocsparse_index_base_.numbered_sgpr, 8
	.set _ZN9rocsparseL21csrgeam_check_row_ptrILj256EllEEvT1_PT0_21rocsparse_index_base_.num_named_barrier, 0
	.set _ZN9rocsparseL21csrgeam_check_row_ptrILj256EllEEvT1_PT0_21rocsparse_index_base_.private_seg_size, 0
	.set _ZN9rocsparseL21csrgeam_check_row_ptrILj256EllEEvT1_PT0_21rocsparse_index_base_.uses_vcc, 1
	.set _ZN9rocsparseL21csrgeam_check_row_ptrILj256EllEEvT1_PT0_21rocsparse_index_base_.uses_flat_scratch, 0
	.set _ZN9rocsparseL21csrgeam_check_row_ptrILj256EllEEvT1_PT0_21rocsparse_index_base_.has_dyn_sized_stack, 0
	.set _ZN9rocsparseL21csrgeam_check_row_ptrILj256EllEEvT1_PT0_21rocsparse_index_base_.has_recursion, 0
	.set _ZN9rocsparseL21csrgeam_check_row_ptrILj256EllEEvT1_PT0_21rocsparse_index_base_.has_indirect_call, 0
	.section	.AMDGPU.csdata,"",@progbits
; Kernel info:
; codeLenInByte = 140
; TotalNumSgprs: 12
; NumVgprs: 3
; ScratchSize: 0
; MemoryBound: 0
; FloatMode: 240
; IeeeMode: 1
; LDSByteSize: 0 bytes/workgroup (compile time only)
; SGPRBlocks: 1
; VGPRBlocks: 0
; NumSGPRsForWavesPerEU: 12
; NumVGPRsForWavesPerEU: 3
; Occupancy: 10
; WaveLimiterHint : 0
; COMPUTE_PGM_RSRC2:SCRATCH_EN: 0
; COMPUTE_PGM_RSRC2:USER_SGPR: 6
; COMPUTE_PGM_RSRC2:TRAP_HANDLER: 0
; COMPUTE_PGM_RSRC2:TGID_X_EN: 1
; COMPUTE_PGM_RSRC2:TGID_Y_EN: 0
; COMPUTE_PGM_RSRC2:TGID_Z_EN: 0
; COMPUTE_PGM_RSRC2:TIDIG_COMP_CNT: 0
	.section	.text._ZN9rocsparseL18csrgeam_index_baseILj1ElEEvPT0_,"axG",@progbits,_ZN9rocsparseL18csrgeam_index_baseILj1ElEEvPT0_,comdat
	.globl	_ZN9rocsparseL18csrgeam_index_baseILj1ElEEvPT0_ ; -- Begin function _ZN9rocsparseL18csrgeam_index_baseILj1ElEEvPT0_
	.p2align	8
	.type	_ZN9rocsparseL18csrgeam_index_baseILj1ElEEvPT0_,@function
_ZN9rocsparseL18csrgeam_index_baseILj1ElEEvPT0_: ; @_ZN9rocsparseL18csrgeam_index_baseILj1ElEEvPT0_
; %bb.0:
	s_load_dwordx2 s[0:1], s[4:5], 0x0
	s_waitcnt lgkmcnt(0)
	s_load_dwordx2 s[2:3], s[0:1], 0x0
	s_waitcnt lgkmcnt(0)
	s_cmp_eq_u64 s[2:3], -1
	s_cbranch_scc1 .LBB11_2
; %bb.1:
	s_add_u32 s2, s2, -1
	s_addc_u32 s3, s3, -1
	v_mov_b32_e32 v0, s2
	v_mov_b32_e32 v2, 0
	;; [unrolled: 1-line block ×3, first 2 shown]
	global_store_dwordx2 v2, v[0:1], s[0:1]
.LBB11_2:
	s_endpgm
	.section	.rodata,"a",@progbits
	.p2align	6, 0x0
	.amdhsa_kernel _ZN9rocsparseL18csrgeam_index_baseILj1ElEEvPT0_
		.amdhsa_group_segment_fixed_size 0
		.amdhsa_private_segment_fixed_size 0
		.amdhsa_kernarg_size 8
		.amdhsa_user_sgpr_count 6
		.amdhsa_user_sgpr_private_segment_buffer 1
		.amdhsa_user_sgpr_dispatch_ptr 0
		.amdhsa_user_sgpr_queue_ptr 0
		.amdhsa_user_sgpr_kernarg_segment_ptr 1
		.amdhsa_user_sgpr_dispatch_id 0
		.amdhsa_user_sgpr_flat_scratch_init 0
		.amdhsa_user_sgpr_private_segment_size 0
		.amdhsa_uses_dynamic_stack 0
		.amdhsa_system_sgpr_private_segment_wavefront_offset 0
		.amdhsa_system_sgpr_workgroup_id_x 1
		.amdhsa_system_sgpr_workgroup_id_y 0
		.amdhsa_system_sgpr_workgroup_id_z 0
		.amdhsa_system_sgpr_workgroup_info 0
		.amdhsa_system_vgpr_workitem_id 0
		.amdhsa_next_free_vgpr 3
		.amdhsa_next_free_sgpr 6
		.amdhsa_reserve_vcc 0
		.amdhsa_reserve_flat_scratch 0
		.amdhsa_float_round_mode_32 0
		.amdhsa_float_round_mode_16_64 0
		.amdhsa_float_denorm_mode_32 3
		.amdhsa_float_denorm_mode_16_64 3
		.amdhsa_dx10_clamp 1
		.amdhsa_ieee_mode 1
		.amdhsa_fp16_overflow 0
		.amdhsa_exception_fp_ieee_invalid_op 0
		.amdhsa_exception_fp_denorm_src 0
		.amdhsa_exception_fp_ieee_div_zero 0
		.amdhsa_exception_fp_ieee_overflow 0
		.amdhsa_exception_fp_ieee_underflow 0
		.amdhsa_exception_fp_ieee_inexact 0
		.amdhsa_exception_int_div_zero 0
	.end_amdhsa_kernel
	.section	.text._ZN9rocsparseL18csrgeam_index_baseILj1ElEEvPT0_,"axG",@progbits,_ZN9rocsparseL18csrgeam_index_baseILj1ElEEvPT0_,comdat
.Lfunc_end11:
	.size	_ZN9rocsparseL18csrgeam_index_baseILj1ElEEvPT0_, .Lfunc_end11-_ZN9rocsparseL18csrgeam_index_baseILj1ElEEvPT0_
                                        ; -- End function
	.set _ZN9rocsparseL18csrgeam_index_baseILj1ElEEvPT0_.num_vgpr, 3
	.set _ZN9rocsparseL18csrgeam_index_baseILj1ElEEvPT0_.num_agpr, 0
	.set _ZN9rocsparseL18csrgeam_index_baseILj1ElEEvPT0_.numbered_sgpr, 6
	.set _ZN9rocsparseL18csrgeam_index_baseILj1ElEEvPT0_.num_named_barrier, 0
	.set _ZN9rocsparseL18csrgeam_index_baseILj1ElEEvPT0_.private_seg_size, 0
	.set _ZN9rocsparseL18csrgeam_index_baseILj1ElEEvPT0_.uses_vcc, 0
	.set _ZN9rocsparseL18csrgeam_index_baseILj1ElEEvPT0_.uses_flat_scratch, 0
	.set _ZN9rocsparseL18csrgeam_index_baseILj1ElEEvPT0_.has_dyn_sized_stack, 0
	.set _ZN9rocsparseL18csrgeam_index_baseILj1ElEEvPT0_.has_recursion, 0
	.set _ZN9rocsparseL18csrgeam_index_baseILj1ElEEvPT0_.has_indirect_call, 0
	.section	.AMDGPU.csdata,"",@progbits
; Kernel info:
; codeLenInByte = 64
; TotalNumSgprs: 10
; NumVgprs: 3
; ScratchSize: 0
; MemoryBound: 0
; FloatMode: 240
; IeeeMode: 1
; LDSByteSize: 0 bytes/workgroup (compile time only)
; SGPRBlocks: 1
; VGPRBlocks: 0
; NumSGPRsForWavesPerEU: 10
; NumVGPRsForWavesPerEU: 3
; Occupancy: 10
; WaveLimiterHint : 0
; COMPUTE_PGM_RSRC2:SCRATCH_EN: 0
; COMPUTE_PGM_RSRC2:USER_SGPR: 6
; COMPUTE_PGM_RSRC2:TRAP_HANDLER: 0
; COMPUTE_PGM_RSRC2:TGID_X_EN: 1
; COMPUTE_PGM_RSRC2:TGID_Y_EN: 0
; COMPUTE_PGM_RSRC2:TGID_Z_EN: 0
; COMPUTE_PGM_RSRC2:TIDIG_COMP_CNT: 0
	.section	.text._ZN9rocsparseL28csrgeam_nnz_multipass_deviceILj256ELj32ElliEEvllPKT1_PKT2_S3_S6_PT3_21rocsparse_index_base_S9_,"axG",@progbits,_ZN9rocsparseL28csrgeam_nnz_multipass_deviceILj256ELj32ElliEEvllPKT1_PKT2_S3_S6_PT3_21rocsparse_index_base_S9_,comdat
	.globl	_ZN9rocsparseL28csrgeam_nnz_multipass_deviceILj256ELj32ElliEEvllPKT1_PKT2_S3_S6_PT3_21rocsparse_index_base_S9_ ; -- Begin function _ZN9rocsparseL28csrgeam_nnz_multipass_deviceILj256ELj32ElliEEvllPKT1_PKT2_S3_S6_PT3_21rocsparse_index_base_S9_
	.p2align	8
	.type	_ZN9rocsparseL28csrgeam_nnz_multipass_deviceILj256ELj32ElliEEvllPKT1_PKT2_S3_S6_PT3_21rocsparse_index_base_S9_,@function
_ZN9rocsparseL28csrgeam_nnz_multipass_deviceILj256ELj32ElliEEvllPKT1_PKT2_S3_S6_PT3_21rocsparse_index_base_S9_: ; @_ZN9rocsparseL28csrgeam_nnz_multipass_deviceILj256ELj32ElliEEvllPKT1_PKT2_S3_S6_PT3_21rocsparse_index_base_S9_
; %bb.0:
	s_load_dwordx4 s[0:3], s[4:5], 0x0
	s_lshl_b32 s6, s6, 3
	v_lshrrev_b32_e32 v1, 5, v0
	s_and_b32 s6, s6, 0x7fffff8
	v_or_b32_e32 v9, s6, v1
	v_mov_b32_e32 v10, 0
	s_waitcnt lgkmcnt(0)
	v_cmp_gt_i64_e32 vcc, s[0:1], v[9:10]
	s_and_saveexec_b64 s[0:1], vcc
	s_cbranch_execz .LBB12_29
; %bb.1:
	s_load_dwordx8 s[8:15], s[4:5], 0x10
	v_lshlrev_b32_e32 v10, 3, v9
	s_load_dwordx2 s[6:7], s[4:5], 0x38
	s_waitcnt lgkmcnt(0)
	global_load_dwordx4 v[1:4], v10, s[8:9]
	global_load_dwordx4 v[5:8], v10, s[12:13]
	v_mov_b32_e32 v11, s3
	v_mov_b32_e32 v10, s2
	s_waitcnt vmcnt(1)
	v_subrev_co_u32_e32 v12, vcc, s6, v1
	v_subbrev_co_u32_e32 v13, vcc, 0, v2, vcc
	v_cmp_lt_i64_e32 vcc, v[1:2], v[3:4]
	s_and_saveexec_b64 s[0:1], vcc
	s_cbranch_execz .LBB12_3
; %bb.2:
	v_lshlrev_b64 v[1:2], 3, v[12:13]
	v_mov_b32_e32 v10, s11
	v_add_co_u32_e32 v1, vcc, s10, v1
	v_addc_co_u32_e32 v2, vcc, v10, v2, vcc
	global_load_dwordx2 v[1:2], v[1:2], off
	s_waitcnt vmcnt(0)
	v_subrev_co_u32_e32 v10, vcc, s6, v1
	v_subbrev_co_u32_e32 v11, vcc, 0, v2, vcc
.LBB12_3:
	s_or_b64 exec, exec, s[0:1]
	s_load_dwordx2 s[4:5], s[4:5], 0x30
	s_waitcnt vmcnt(0)
	v_subrev_co_u32_e32 v14, vcc, s7, v5
	v_subbrev_co_u32_e32 v15, vcc, 0, v6, vcc
	v_cmp_lt_i64_e32 vcc, v[5:6], v[7:8]
	v_mov_b32_e32 v6, s3
	s_mov_b32 s20, s7
	v_mov_b32_e32 v5, s2
	s_and_saveexec_b64 s[0:1], vcc
	s_cbranch_execz .LBB12_5
; %bb.4:
	v_lshlrev_b64 v[1:2], 3, v[14:15]
	v_mov_b32_e32 v5, s15
	v_add_co_u32_e32 v1, vcc, s14, v1
	v_addc_co_u32_e32 v2, vcc, v5, v2, vcc
	global_load_dwordx2 v[1:2], v[1:2], off
	s_waitcnt vmcnt(0)
	v_subrev_co_u32_e32 v5, vcc, s20, v1
	v_subbrev_co_u32_e32 v6, vcc, 0, v2, vcc
.LBB12_5:
	s_or_b64 exec, exec, s[0:1]
	v_subrev_co_u32_e32 v1, vcc, s6, v3
	v_subbrev_co_u32_e32 v2, vcc, 0, v4, vcc
	v_subrev_co_u32_e32 v3, vcc, s20, v7
	v_subbrev_co_u32_e32 v4, vcc, 0, v8, vcc
	v_cmp_lt_i64_e32 vcc, v[5:6], v[10:11]
	v_and_b32_e32 v20, 0xe0, v0
	v_and_b32_e32 v0, 31, v0
	v_cndmask_b32_e32 v11, v11, v6, vcc
	v_cndmask_b32_e32 v10, v10, v5, vcc
	v_add_co_u32_e32 v5, vcc, v12, v0
	v_mbcnt_lo_u32_b32 v12, -1, 0
	v_addc_co_u32_e32 v6, vcc, 0, v13, vcc
	v_mbcnt_hi_u32_b32 v12, -1, v12
	v_add_co_u32_e32 v7, vcc, v14, v0
	v_and_b32_e32 v13, 64, v12
	v_addc_co_u32_e32 v8, vcc, 0, v15, vcc
	v_add_u32_e32 v13, 64, v13
	v_xor_b32_e32 v14, 16, v12
	v_cmp_lt_i32_e32 vcc, v14, v13
	v_cndmask_b32_e32 v14, v12, v14, vcc
	v_lshlrev_b32_e32 v21, 2, v14
	v_xor_b32_e32 v14, 8, v12
	v_cmp_lt_i32_e32 vcc, v14, v13
	v_cndmask_b32_e32 v14, v12, v14, vcc
	v_lshlrev_b32_e32 v22, 2, v14
	;; [unrolled: 4-line block ×4, first 2 shown]
	v_xor_b32_e32 v14, 1, v12
	v_cmp_lt_i32_e32 vcc, v14, v13
	v_cndmask_b32_e32 v12, v12, v14, vcc
	s_mov_b32 s7, 0
	v_lshlrev_b32_e32 v25, 2, v12
	s_mov_b64 s[8:9], 0
	v_mov_b32_e32 v26, 1
	s_branch .LBB12_8
.LBB12_6:                               ;   in Loop: Header=BB12_8 Depth=1
	s_or_b64 exec, exec, s[16:17]
.LBB12_7:                               ;   in Loop: Header=BB12_8 Depth=1
	s_or_b64 exec, exec, s[12:13]
	ds_bpermute_b32 v10, v21, v12
	ds_bpermute_b32 v11, v21, v13
	s_waitcnt lgkmcnt(0)
	ds_read_u8 v14, v27
	v_cmp_lt_i64_e32 vcc, v[10:11], v[12:13]
	v_cndmask_b32_e32 v11, v13, v11, vcc
	v_cndmask_b32_e32 v10, v12, v10, vcc
	ds_bpermute_b32 v13, v22, v11
	ds_bpermute_b32 v12, v22, v10
	s_waitcnt lgkmcnt(0)
	v_cmp_lt_i64_e32 vcc, v[12:13], v[10:11]
	v_cndmask_b32_e32 v11, v11, v13, vcc
	v_cndmask_b32_e32 v10, v10, v12, vcc
	ds_bpermute_b32 v13, v23, v11
	ds_bpermute_b32 v12, v23, v10
	s_waitcnt lgkmcnt(0)
	;; [unrolled: 6-line block ×3, first 2 shown]
	v_cmp_lt_i64_e32 vcc, v[12:13], v[10:11]
	v_cndmask_b32_e32 v11, v11, v13, vcc
	v_cndmask_b32_e32 v10, v10, v12, vcc
	ds_bpermute_b32 v12, v25, v10
	ds_bpermute_b32 v13, v25, v11
	v_cmp_ne_u16_e32 vcc, 0, v14
	s_bcnt1_i32_b64 s0, vcc
	s_add_i32 s7, s7, s0
	s_waitcnt lgkmcnt(0)
	v_cmp_lt_i64_e32 vcc, v[12:13], v[10:11]
	v_cndmask_b32_e32 v11, v11, v13, vcc
	v_cndmask_b32_e32 v10, v10, v12, vcc
	v_cmp_le_i64_e32 vcc, s[2:3], v[10:11]
	v_mov_b32_e32 v12, s7
	s_or_b64 s[8:9], vcc, s[8:9]
	s_andn2_b64 exec, exec, s[8:9]
	s_cbranch_execz .LBB12_27
.LBB12_8:                               ; =>This Loop Header: Depth=1
                                        ;     Child Loop BB12_11 Depth 2
                                        ;     Child Loop BB12_21 Depth 2
	v_add_u32_e32 v27, v20, v0
	v_mov_b32_e32 v12, 0
	ds_write_b8 v27, v12
	v_cmp_lt_i64_e32 vcc, v[5:6], v[1:2]
	v_mov_b32_e32 v13, s3
	v_mov_b32_e32 v12, s2
	s_waitcnt lgkmcnt(0)
	s_and_saveexec_b64 s[12:13], vcc
	s_cbranch_execz .LBB12_18
; %bb.9:                                ;   in Loop: Header=BB12_8 Depth=1
	v_lshlrev_b64 v[12:13], 3, v[5:6]
	v_mov_b32_e32 v15, s11
	v_add_co_u32_e32 v14, vcc, s10, v12
	v_addc_co_u32_e32 v15, vcc, v15, v13, vcc
	v_mov_b32_e32 v13, s3
	s_mov_b64 s[16:17], 0
	v_mov_b32_e32 v12, s2
	s_branch .LBB12_11
.LBB12_10:                              ;   in Loop: Header=BB12_11 Depth=2
	s_or_b64 exec, exec, s[18:19]
	s_and_b64 s[0:1], exec, s[0:1]
	s_or_b64 s[16:17], s[0:1], s[16:17]
	s_andn2_b64 exec, exec, s[16:17]
	s_cbranch_execz .LBB12_17
.LBB12_11:                              ;   Parent Loop BB12_8 Depth=1
                                        ; =>  This Inner Loop Header: Depth=2
	global_load_dwordx2 v[16:17], v[14:15], off
	s_waitcnt vmcnt(0)
	v_subrev_co_u32_e32 v18, vcc, s6, v16
	v_subbrev_co_u32_e32 v19, vcc, 0, v17, vcc
	v_sub_co_u32_e32 v16, vcc, v18, v10
	v_subb_co_u32_e32 v17, vcc, v19, v11, vcc
	v_cmp_gt_i64_e32 vcc, 32, v[16:17]
	v_cmp_lt_i64_e64 s[0:1], 31, v[16:17]
	s_and_saveexec_b64 s[18:19], s[0:1]
	s_xor_b64 s[18:19], exec, s[18:19]
	s_cbranch_execnz .LBB12_14
; %bb.12:                               ;   in Loop: Header=BB12_11 Depth=2
	s_andn2_saveexec_b64 s[0:1], s[18:19]
	s_cbranch_execnz .LBB12_15
.LBB12_13:                              ;   in Loop: Header=BB12_11 Depth=2
	s_or_b64 exec, exec, s[0:1]
	s_mov_b64 s[0:1], -1
	s_and_saveexec_b64 s[18:19], vcc
	s_cbranch_execz .LBB12_10
	s_branch .LBB12_16
.LBB12_14:                              ;   in Loop: Header=BB12_11 Depth=2
	v_cmp_lt_i64_e64 s[0:1], v[18:19], v[12:13]
                                        ; implicit-def: $vgpr16
	v_cndmask_b32_e64 v13, v13, v19, s[0:1]
	v_cndmask_b32_e64 v12, v12, v18, s[0:1]
	s_andn2_saveexec_b64 s[0:1], s[18:19]
	s_cbranch_execz .LBB12_13
.LBB12_15:                              ;   in Loop: Header=BB12_11 Depth=2
	v_add_u32_e32 v16, v20, v16
	ds_write_b8 v16, v26
	s_or_b64 exec, exec, s[0:1]
	s_mov_b64 s[0:1], -1
	s_and_saveexec_b64 s[18:19], vcc
	s_cbranch_execz .LBB12_10
.LBB12_16:                              ;   in Loop: Header=BB12_11 Depth=2
	v_add_co_u32_e32 v5, vcc, 32, v5
	v_addc_co_u32_e32 v6, vcc, 0, v6, vcc
	v_cmp_ge_i64_e64 s[0:1], v[5:6], v[1:2]
	v_add_co_u32_e32 v14, vcc, 0x100, v14
	v_addc_co_u32_e32 v15, vcc, 0, v15, vcc
	s_orn2_b64 s[0:1], s[0:1], exec
	s_branch .LBB12_10
.LBB12_17:                              ;   in Loop: Header=BB12_8 Depth=1
	s_or_b64 exec, exec, s[16:17]
.LBB12_18:                              ;   in Loop: Header=BB12_8 Depth=1
	s_or_b64 exec, exec, s[12:13]
	v_cmp_lt_i64_e32 vcc, v[7:8], v[3:4]
	s_and_saveexec_b64 s[12:13], vcc
	s_cbranch_execz .LBB12_7
; %bb.19:                               ;   in Loop: Header=BB12_8 Depth=1
	v_lshlrev_b64 v[14:15], 3, v[7:8]
	v_mov_b32_e32 v16, s15
	v_add_co_u32_e32 v14, vcc, s14, v14
	v_addc_co_u32_e32 v15, vcc, v16, v15, vcc
	s_mov_b64 s[16:17], 0
	s_branch .LBB12_21
.LBB12_20:                              ;   in Loop: Header=BB12_21 Depth=2
	s_or_b64 exec, exec, s[18:19]
	s_and_b64 s[0:1], exec, s[0:1]
	s_or_b64 s[16:17], s[0:1], s[16:17]
	s_andn2_b64 exec, exec, s[16:17]
	s_cbranch_execz .LBB12_6
.LBB12_21:                              ;   Parent Loop BB12_8 Depth=1
                                        ; =>  This Inner Loop Header: Depth=2
	global_load_dwordx2 v[16:17], v[14:15], off
	s_waitcnt vmcnt(0)
	v_subrev_co_u32_e32 v18, vcc, s20, v16
	v_subbrev_co_u32_e32 v19, vcc, 0, v17, vcc
	v_sub_co_u32_e32 v16, vcc, v18, v10
	v_subb_co_u32_e32 v17, vcc, v19, v11, vcc
	v_cmp_gt_i64_e32 vcc, 32, v[16:17]
	v_cmp_lt_i64_e64 s[0:1], 31, v[16:17]
	s_and_saveexec_b64 s[18:19], s[0:1]
	s_xor_b64 s[18:19], exec, s[18:19]
	s_cbranch_execnz .LBB12_24
; %bb.22:                               ;   in Loop: Header=BB12_21 Depth=2
	s_andn2_saveexec_b64 s[0:1], s[18:19]
	s_cbranch_execnz .LBB12_25
.LBB12_23:                              ;   in Loop: Header=BB12_21 Depth=2
	s_or_b64 exec, exec, s[0:1]
	s_mov_b64 s[0:1], -1
	s_and_saveexec_b64 s[18:19], vcc
	s_cbranch_execz .LBB12_20
	s_branch .LBB12_26
.LBB12_24:                              ;   in Loop: Header=BB12_21 Depth=2
	v_cmp_lt_i64_e64 s[0:1], v[18:19], v[12:13]
                                        ; implicit-def: $vgpr16
	v_cndmask_b32_e64 v13, v13, v19, s[0:1]
	v_cndmask_b32_e64 v12, v12, v18, s[0:1]
	s_andn2_saveexec_b64 s[0:1], s[18:19]
	s_cbranch_execz .LBB12_23
.LBB12_25:                              ;   in Loop: Header=BB12_21 Depth=2
	v_add_u32_e32 v16, v20, v16
	ds_write_b8 v16, v26
	s_or_b64 exec, exec, s[0:1]
	s_mov_b64 s[0:1], -1
	s_and_saveexec_b64 s[18:19], vcc
	s_cbranch_execz .LBB12_20
.LBB12_26:                              ;   in Loop: Header=BB12_21 Depth=2
	v_add_co_u32_e32 v7, vcc, 32, v7
	v_addc_co_u32_e32 v8, vcc, 0, v8, vcc
	v_cmp_ge_i64_e64 s[0:1], v[7:8], v[3:4]
	v_add_co_u32_e32 v14, vcc, 0x100, v14
	v_addc_co_u32_e32 v15, vcc, 0, v15, vcc
	s_orn2_b64 s[0:1], s[0:1], exec
	s_branch .LBB12_20
.LBB12_27:
	s_or_b64 exec, exec, s[8:9]
	v_cmp_eq_u32_e32 vcc, 31, v0
	s_and_b64 exec, exec, vcc
	s_cbranch_execz .LBB12_29
; %bb.28:
	v_lshlrev_b32_e32 v0, 2, v9
	global_store_dword v0, v12, s[4:5]
.LBB12_29:
	s_endpgm
	.section	.rodata,"a",@progbits
	.p2align	6, 0x0
	.amdhsa_kernel _ZN9rocsparseL28csrgeam_nnz_multipass_deviceILj256ELj32ElliEEvllPKT1_PKT2_S3_S6_PT3_21rocsparse_index_base_S9_
		.amdhsa_group_segment_fixed_size 256
		.amdhsa_private_segment_fixed_size 0
		.amdhsa_kernarg_size 64
		.amdhsa_user_sgpr_count 6
		.amdhsa_user_sgpr_private_segment_buffer 1
		.amdhsa_user_sgpr_dispatch_ptr 0
		.amdhsa_user_sgpr_queue_ptr 0
		.amdhsa_user_sgpr_kernarg_segment_ptr 1
		.amdhsa_user_sgpr_dispatch_id 0
		.amdhsa_user_sgpr_flat_scratch_init 0
		.amdhsa_user_sgpr_private_segment_size 0
		.amdhsa_uses_dynamic_stack 0
		.amdhsa_system_sgpr_private_segment_wavefront_offset 0
		.amdhsa_system_sgpr_workgroup_id_x 1
		.amdhsa_system_sgpr_workgroup_id_y 0
		.amdhsa_system_sgpr_workgroup_id_z 0
		.amdhsa_system_sgpr_workgroup_info 0
		.amdhsa_system_vgpr_workitem_id 0
		.amdhsa_next_free_vgpr 28
		.amdhsa_next_free_sgpr 21
		.amdhsa_reserve_vcc 1
		.amdhsa_reserve_flat_scratch 0
		.amdhsa_float_round_mode_32 0
		.amdhsa_float_round_mode_16_64 0
		.amdhsa_float_denorm_mode_32 3
		.amdhsa_float_denorm_mode_16_64 3
		.amdhsa_dx10_clamp 1
		.amdhsa_ieee_mode 1
		.amdhsa_fp16_overflow 0
		.amdhsa_exception_fp_ieee_invalid_op 0
		.amdhsa_exception_fp_denorm_src 0
		.amdhsa_exception_fp_ieee_div_zero 0
		.amdhsa_exception_fp_ieee_overflow 0
		.amdhsa_exception_fp_ieee_underflow 0
		.amdhsa_exception_fp_ieee_inexact 0
		.amdhsa_exception_int_div_zero 0
	.end_amdhsa_kernel
	.section	.text._ZN9rocsparseL28csrgeam_nnz_multipass_deviceILj256ELj32ElliEEvllPKT1_PKT2_S3_S6_PT3_21rocsparse_index_base_S9_,"axG",@progbits,_ZN9rocsparseL28csrgeam_nnz_multipass_deviceILj256ELj32ElliEEvllPKT1_PKT2_S3_S6_PT3_21rocsparse_index_base_S9_,comdat
.Lfunc_end12:
	.size	_ZN9rocsparseL28csrgeam_nnz_multipass_deviceILj256ELj32ElliEEvllPKT1_PKT2_S3_S6_PT3_21rocsparse_index_base_S9_, .Lfunc_end12-_ZN9rocsparseL28csrgeam_nnz_multipass_deviceILj256ELj32ElliEEvllPKT1_PKT2_S3_S6_PT3_21rocsparse_index_base_S9_
                                        ; -- End function
	.set _ZN9rocsparseL28csrgeam_nnz_multipass_deviceILj256ELj32ElliEEvllPKT1_PKT2_S3_S6_PT3_21rocsparse_index_base_S9_.num_vgpr, 28
	.set _ZN9rocsparseL28csrgeam_nnz_multipass_deviceILj256ELj32ElliEEvllPKT1_PKT2_S3_S6_PT3_21rocsparse_index_base_S9_.num_agpr, 0
	.set _ZN9rocsparseL28csrgeam_nnz_multipass_deviceILj256ELj32ElliEEvllPKT1_PKT2_S3_S6_PT3_21rocsparse_index_base_S9_.numbered_sgpr, 21
	.set _ZN9rocsparseL28csrgeam_nnz_multipass_deviceILj256ELj32ElliEEvllPKT1_PKT2_S3_S6_PT3_21rocsparse_index_base_S9_.num_named_barrier, 0
	.set _ZN9rocsparseL28csrgeam_nnz_multipass_deviceILj256ELj32ElliEEvllPKT1_PKT2_S3_S6_PT3_21rocsparse_index_base_S9_.private_seg_size, 0
	.set _ZN9rocsparseL28csrgeam_nnz_multipass_deviceILj256ELj32ElliEEvllPKT1_PKT2_S3_S6_PT3_21rocsparse_index_base_S9_.uses_vcc, 1
	.set _ZN9rocsparseL28csrgeam_nnz_multipass_deviceILj256ELj32ElliEEvllPKT1_PKT2_S3_S6_PT3_21rocsparse_index_base_S9_.uses_flat_scratch, 0
	.set _ZN9rocsparseL28csrgeam_nnz_multipass_deviceILj256ELj32ElliEEvllPKT1_PKT2_S3_S6_PT3_21rocsparse_index_base_S9_.has_dyn_sized_stack, 0
	.set _ZN9rocsparseL28csrgeam_nnz_multipass_deviceILj256ELj32ElliEEvllPKT1_PKT2_S3_S6_PT3_21rocsparse_index_base_S9_.has_recursion, 0
	.set _ZN9rocsparseL28csrgeam_nnz_multipass_deviceILj256ELj32ElliEEvllPKT1_PKT2_S3_S6_PT3_21rocsparse_index_base_S9_.has_indirect_call, 0
	.section	.AMDGPU.csdata,"",@progbits
; Kernel info:
; codeLenInByte = 1184
; TotalNumSgprs: 25
; NumVgprs: 28
; ScratchSize: 0
; MemoryBound: 0
; FloatMode: 240
; IeeeMode: 1
; LDSByteSize: 256 bytes/workgroup (compile time only)
; SGPRBlocks: 3
; VGPRBlocks: 6
; NumSGPRsForWavesPerEU: 25
; NumVGPRsForWavesPerEU: 28
; Occupancy: 9
; WaveLimiterHint : 1
; COMPUTE_PGM_RSRC2:SCRATCH_EN: 0
; COMPUTE_PGM_RSRC2:USER_SGPR: 6
; COMPUTE_PGM_RSRC2:TRAP_HANDLER: 0
; COMPUTE_PGM_RSRC2:TGID_X_EN: 1
; COMPUTE_PGM_RSRC2:TGID_Y_EN: 0
; COMPUTE_PGM_RSRC2:TGID_Z_EN: 0
; COMPUTE_PGM_RSRC2:TIDIG_COMP_CNT: 0
	.section	.text._ZN9rocsparseL28csrgeam_nnz_multipass_deviceILj256ELj32ElllEEvllPKT1_PKT2_S3_S6_PT3_21rocsparse_index_base_S9_,"axG",@progbits,_ZN9rocsparseL28csrgeam_nnz_multipass_deviceILj256ELj32ElllEEvllPKT1_PKT2_S3_S6_PT3_21rocsparse_index_base_S9_,comdat
	.globl	_ZN9rocsparseL28csrgeam_nnz_multipass_deviceILj256ELj32ElllEEvllPKT1_PKT2_S3_S6_PT3_21rocsparse_index_base_S9_ ; -- Begin function _ZN9rocsparseL28csrgeam_nnz_multipass_deviceILj256ELj32ElllEEvllPKT1_PKT2_S3_S6_PT3_21rocsparse_index_base_S9_
	.p2align	8
	.type	_ZN9rocsparseL28csrgeam_nnz_multipass_deviceILj256ELj32ElllEEvllPKT1_PKT2_S3_S6_PT3_21rocsparse_index_base_S9_,@function
_ZN9rocsparseL28csrgeam_nnz_multipass_deviceILj256ELj32ElllEEvllPKT1_PKT2_S3_S6_PT3_21rocsparse_index_base_S9_: ; @_ZN9rocsparseL28csrgeam_nnz_multipass_deviceILj256ELj32ElllEEvllPKT1_PKT2_S3_S6_PT3_21rocsparse_index_base_S9_
; %bb.0:
	s_load_dwordx4 s[0:3], s[4:5], 0x0
	s_lshl_b32 s6, s6, 3
	v_lshrrev_b32_e32 v1, 5, v0
	s_and_b32 s6, s6, 0x7fffff8
	v_or_b32_e32 v1, s6, v1
	v_mov_b32_e32 v2, 0
	s_waitcnt lgkmcnt(0)
	v_cmp_gt_i64_e32 vcc, s[0:1], v[1:2]
	s_and_saveexec_b64 s[0:1], vcc
	s_cbranch_execz .LBB13_29
; %bb.1:
	s_load_dwordx8 s[8:15], s[4:5], 0x10
	v_lshlrev_b32_e32 v19, 3, v1
	s_load_dwordx2 s[6:7], s[4:5], 0x38
	v_mov_b32_e32 v10, s3
	v_mov_b32_e32 v9, s2
	s_waitcnt lgkmcnt(0)
	global_load_dwordx4 v[1:4], v19, s[8:9]
	global_load_dwordx4 v[5:8], v19, s[12:13]
	s_waitcnt vmcnt(1)
	v_subrev_co_u32_e32 v11, vcc, s6, v1
	v_subbrev_co_u32_e32 v12, vcc, 0, v2, vcc
	v_cmp_lt_i64_e32 vcc, v[1:2], v[3:4]
	s_and_saveexec_b64 s[0:1], vcc
	s_cbranch_execz .LBB13_3
; %bb.2:
	v_lshlrev_b64 v[1:2], 3, v[11:12]
	v_mov_b32_e32 v9, s11
	v_add_co_u32_e32 v1, vcc, s10, v1
	v_addc_co_u32_e32 v2, vcc, v9, v2, vcc
	global_load_dwordx2 v[1:2], v[1:2], off
	s_waitcnt vmcnt(0)
	v_subrev_co_u32_e32 v9, vcc, s6, v1
	v_subbrev_co_u32_e32 v10, vcc, 0, v2, vcc
.LBB13_3:
	s_or_b64 exec, exec, s[0:1]
	s_load_dwordx2 s[4:5], s[4:5], 0x30
	s_waitcnt vmcnt(0)
	v_subrev_co_u32_e32 v13, vcc, s7, v5
	v_subbrev_co_u32_e32 v14, vcc, 0, v6, vcc
	v_cmp_lt_i64_e32 vcc, v[5:6], v[7:8]
	v_mov_b32_e32 v6, s3
	s_mov_b32 s22, s7
	v_mov_b32_e32 v5, s2
	s_and_saveexec_b64 s[0:1], vcc
	s_cbranch_execz .LBB13_5
; %bb.4:
	v_lshlrev_b64 v[1:2], 3, v[13:14]
	v_mov_b32_e32 v5, s15
	v_add_co_u32_e32 v1, vcc, s14, v1
	v_addc_co_u32_e32 v2, vcc, v5, v2, vcc
	global_load_dwordx2 v[1:2], v[1:2], off
	s_waitcnt vmcnt(0)
	v_subrev_co_u32_e32 v5, vcc, s22, v1
	v_subbrev_co_u32_e32 v6, vcc, 0, v2, vcc
.LBB13_5:
	s_or_b64 exec, exec, s[0:1]
	v_subrev_co_u32_e32 v1, vcc, s6, v3
	v_subbrev_co_u32_e32 v2, vcc, 0, v4, vcc
	v_subrev_co_u32_e32 v3, vcc, s22, v7
	v_subbrev_co_u32_e32 v4, vcc, 0, v8, vcc
	v_cmp_lt_i64_e32 vcc, v[5:6], v[9:10]
	v_and_b32_e32 v20, 0xe0, v0
	v_and_b32_e32 v0, 31, v0
	v_cndmask_b32_e32 v10, v10, v6, vcc
	v_cndmask_b32_e32 v9, v9, v5, vcc
	v_add_co_u32_e32 v5, vcc, v11, v0
	v_mbcnt_lo_u32_b32 v11, -1, 0
	v_addc_co_u32_e32 v6, vcc, 0, v12, vcc
	v_mbcnt_hi_u32_b32 v11, -1, v11
	v_add_co_u32_e32 v7, vcc, v13, v0
	v_and_b32_e32 v12, 64, v11
	v_addc_co_u32_e32 v8, vcc, 0, v14, vcc
	v_add_u32_e32 v12, 64, v12
	v_xor_b32_e32 v13, 16, v11
	v_cmp_lt_i32_e32 vcc, v13, v12
	v_cndmask_b32_e32 v13, v11, v13, vcc
	v_lshlrev_b32_e32 v21, 2, v13
	v_xor_b32_e32 v13, 8, v11
	v_cmp_lt_i32_e32 vcc, v13, v12
	v_cndmask_b32_e32 v13, v11, v13, vcc
	v_lshlrev_b32_e32 v22, 2, v13
	;; [unrolled: 4-line block ×5, first 2 shown]
	s_mov_b64 s[8:9], 0
	v_mov_b32_e32 v26, 1
	s_mov_b64 s[12:13], 0
	s_branch .LBB13_8
.LBB13_6:                               ;   in Loop: Header=BB13_8 Depth=1
	s_or_b64 exec, exec, s[18:19]
.LBB13_7:                               ;   in Loop: Header=BB13_8 Depth=1
	s_or_b64 exec, exec, s[16:17]
	ds_bpermute_b32 v9, v21, v11
	ds_bpermute_b32 v10, v21, v12
	s_waitcnt lgkmcnt(0)
	ds_read_u8 v13, v27
	v_cmp_lt_i64_e32 vcc, v[9:10], v[11:12]
	v_cndmask_b32_e32 v10, v12, v10, vcc
	v_cndmask_b32_e32 v9, v11, v9, vcc
	ds_bpermute_b32 v12, v22, v10
	ds_bpermute_b32 v11, v22, v9
	s_waitcnt lgkmcnt(0)
	v_cmp_lt_i64_e32 vcc, v[11:12], v[9:10]
	v_cndmask_b32_e32 v10, v10, v12, vcc
	v_cndmask_b32_e32 v9, v9, v11, vcc
	ds_bpermute_b32 v12, v23, v10
	ds_bpermute_b32 v11, v23, v9
	s_waitcnt lgkmcnt(0)
	;; [unrolled: 6-line block ×3, first 2 shown]
	v_cmp_lt_i64_e32 vcc, v[11:12], v[9:10]
	v_cndmask_b32_e32 v10, v10, v12, vcc
	v_cndmask_b32_e32 v9, v9, v11, vcc
	ds_bpermute_b32 v12, v25, v10
	ds_bpermute_b32 v11, v25, v9
	v_cmp_ne_u16_e32 vcc, 0, v13
	s_bcnt1_i32_b64 s0, vcc
	s_add_u32 s12, s0, s12
	s_addc_u32 s13, 0, s13
	s_waitcnt lgkmcnt(0)
	v_cmp_lt_i64_e32 vcc, v[11:12], v[9:10]
	v_cndmask_b32_e32 v10, v10, v12, vcc
	v_cndmask_b32_e32 v9, v9, v11, vcc
	v_cmp_le_i64_e32 vcc, s[2:3], v[9:10]
	v_mov_b32_e32 v11, s12
	s_or_b64 s[8:9], vcc, s[8:9]
	v_mov_b32_e32 v12, s13
	s_andn2_b64 exec, exec, s[8:9]
	s_cbranch_execz .LBB13_27
.LBB13_8:                               ; =>This Loop Header: Depth=1
                                        ;     Child Loop BB13_11 Depth 2
                                        ;     Child Loop BB13_21 Depth 2
	v_add_u32_e32 v27, v20, v0
	v_mov_b32_e32 v11, 0
	ds_write_b8 v27, v11
	v_cmp_lt_i64_e32 vcc, v[5:6], v[1:2]
	v_mov_b32_e32 v12, s3
	v_mov_b32_e32 v11, s2
	s_waitcnt lgkmcnt(0)
	s_and_saveexec_b64 s[16:17], vcc
	s_cbranch_execz .LBB13_18
; %bb.9:                                ;   in Loop: Header=BB13_8 Depth=1
	v_lshlrev_b64 v[11:12], 3, v[5:6]
	v_mov_b32_e32 v14, s11
	v_add_co_u32_e32 v13, vcc, s10, v11
	v_addc_co_u32_e32 v14, vcc, v14, v12, vcc
	v_mov_b32_e32 v12, s3
	s_mov_b64 s[18:19], 0
	v_mov_b32_e32 v11, s2
	s_branch .LBB13_11
.LBB13_10:                              ;   in Loop: Header=BB13_11 Depth=2
	s_or_b64 exec, exec, s[20:21]
	s_and_b64 s[0:1], exec, s[0:1]
	s_or_b64 s[18:19], s[0:1], s[18:19]
	s_andn2_b64 exec, exec, s[18:19]
	s_cbranch_execz .LBB13_17
.LBB13_11:                              ;   Parent Loop BB13_8 Depth=1
                                        ; =>  This Inner Loop Header: Depth=2
	global_load_dwordx2 v[15:16], v[13:14], off
	s_waitcnt vmcnt(0)
	v_subrev_co_u32_e32 v17, vcc, s6, v15
	v_subbrev_co_u32_e32 v18, vcc, 0, v16, vcc
	v_sub_co_u32_e32 v15, vcc, v17, v9
	v_subb_co_u32_e32 v16, vcc, v18, v10, vcc
	v_cmp_gt_i64_e32 vcc, 32, v[15:16]
	v_cmp_lt_i64_e64 s[0:1], 31, v[15:16]
	s_and_saveexec_b64 s[20:21], s[0:1]
	s_xor_b64 s[20:21], exec, s[20:21]
	s_cbranch_execnz .LBB13_14
; %bb.12:                               ;   in Loop: Header=BB13_11 Depth=2
	s_andn2_saveexec_b64 s[0:1], s[20:21]
	s_cbranch_execnz .LBB13_15
.LBB13_13:                              ;   in Loop: Header=BB13_11 Depth=2
	s_or_b64 exec, exec, s[0:1]
	s_mov_b64 s[0:1], -1
	s_and_saveexec_b64 s[20:21], vcc
	s_cbranch_execz .LBB13_10
	s_branch .LBB13_16
.LBB13_14:                              ;   in Loop: Header=BB13_11 Depth=2
	v_cmp_lt_i64_e64 s[0:1], v[17:18], v[11:12]
                                        ; implicit-def: $vgpr15
	v_cndmask_b32_e64 v12, v12, v18, s[0:1]
	v_cndmask_b32_e64 v11, v11, v17, s[0:1]
	s_andn2_saveexec_b64 s[0:1], s[20:21]
	s_cbranch_execz .LBB13_13
.LBB13_15:                              ;   in Loop: Header=BB13_11 Depth=2
	v_add_u32_e32 v15, v20, v15
	ds_write_b8 v15, v26
	s_or_b64 exec, exec, s[0:1]
	s_mov_b64 s[0:1], -1
	s_and_saveexec_b64 s[20:21], vcc
	s_cbranch_execz .LBB13_10
.LBB13_16:                              ;   in Loop: Header=BB13_11 Depth=2
	v_add_co_u32_e32 v5, vcc, 32, v5
	v_addc_co_u32_e32 v6, vcc, 0, v6, vcc
	v_cmp_ge_i64_e64 s[0:1], v[5:6], v[1:2]
	v_add_co_u32_e32 v13, vcc, 0x100, v13
	v_addc_co_u32_e32 v14, vcc, 0, v14, vcc
	s_orn2_b64 s[0:1], s[0:1], exec
	s_branch .LBB13_10
.LBB13_17:                              ;   in Loop: Header=BB13_8 Depth=1
	s_or_b64 exec, exec, s[18:19]
.LBB13_18:                              ;   in Loop: Header=BB13_8 Depth=1
	s_or_b64 exec, exec, s[16:17]
	v_cmp_lt_i64_e32 vcc, v[7:8], v[3:4]
	s_and_saveexec_b64 s[16:17], vcc
	s_cbranch_execz .LBB13_7
; %bb.19:                               ;   in Loop: Header=BB13_8 Depth=1
	v_lshlrev_b64 v[13:14], 3, v[7:8]
	v_mov_b32_e32 v15, s15
	v_add_co_u32_e32 v13, vcc, s14, v13
	v_addc_co_u32_e32 v14, vcc, v15, v14, vcc
	s_mov_b64 s[18:19], 0
	s_branch .LBB13_21
.LBB13_20:                              ;   in Loop: Header=BB13_21 Depth=2
	s_or_b64 exec, exec, s[20:21]
	s_and_b64 s[0:1], exec, s[0:1]
	s_or_b64 s[18:19], s[0:1], s[18:19]
	s_andn2_b64 exec, exec, s[18:19]
	s_cbranch_execz .LBB13_6
.LBB13_21:                              ;   Parent Loop BB13_8 Depth=1
                                        ; =>  This Inner Loop Header: Depth=2
	global_load_dwordx2 v[15:16], v[13:14], off
	s_waitcnt vmcnt(0)
	v_subrev_co_u32_e32 v17, vcc, s22, v15
	v_subbrev_co_u32_e32 v18, vcc, 0, v16, vcc
	v_sub_co_u32_e32 v15, vcc, v17, v9
	v_subb_co_u32_e32 v16, vcc, v18, v10, vcc
	v_cmp_gt_i64_e32 vcc, 32, v[15:16]
	v_cmp_lt_i64_e64 s[0:1], 31, v[15:16]
	s_and_saveexec_b64 s[20:21], s[0:1]
	s_xor_b64 s[20:21], exec, s[20:21]
	s_cbranch_execnz .LBB13_24
; %bb.22:                               ;   in Loop: Header=BB13_21 Depth=2
	s_andn2_saveexec_b64 s[0:1], s[20:21]
	s_cbranch_execnz .LBB13_25
.LBB13_23:                              ;   in Loop: Header=BB13_21 Depth=2
	s_or_b64 exec, exec, s[0:1]
	s_mov_b64 s[0:1], -1
	s_and_saveexec_b64 s[20:21], vcc
	s_cbranch_execz .LBB13_20
	s_branch .LBB13_26
.LBB13_24:                              ;   in Loop: Header=BB13_21 Depth=2
	v_cmp_lt_i64_e64 s[0:1], v[17:18], v[11:12]
                                        ; implicit-def: $vgpr15
	v_cndmask_b32_e64 v12, v12, v18, s[0:1]
	v_cndmask_b32_e64 v11, v11, v17, s[0:1]
	s_andn2_saveexec_b64 s[0:1], s[20:21]
	s_cbranch_execz .LBB13_23
.LBB13_25:                              ;   in Loop: Header=BB13_21 Depth=2
	v_add_u32_e32 v15, v20, v15
	ds_write_b8 v15, v26
	s_or_b64 exec, exec, s[0:1]
	s_mov_b64 s[0:1], -1
	s_and_saveexec_b64 s[20:21], vcc
	s_cbranch_execz .LBB13_20
.LBB13_26:                              ;   in Loop: Header=BB13_21 Depth=2
	v_add_co_u32_e32 v7, vcc, 32, v7
	v_addc_co_u32_e32 v8, vcc, 0, v8, vcc
	v_cmp_ge_i64_e64 s[0:1], v[7:8], v[3:4]
	v_add_co_u32_e32 v13, vcc, 0x100, v13
	v_addc_co_u32_e32 v14, vcc, 0, v14, vcc
	s_orn2_b64 s[0:1], s[0:1], exec
	s_branch .LBB13_20
.LBB13_27:
	s_or_b64 exec, exec, s[8:9]
	v_cmp_eq_u32_e32 vcc, 31, v0
	s_and_b64 exec, exec, vcc
	s_cbranch_execz .LBB13_29
; %bb.28:
	global_store_dwordx2 v19, v[11:12], s[4:5]
.LBB13_29:
	s_endpgm
	.section	.rodata,"a",@progbits
	.p2align	6, 0x0
	.amdhsa_kernel _ZN9rocsparseL28csrgeam_nnz_multipass_deviceILj256ELj32ElllEEvllPKT1_PKT2_S3_S6_PT3_21rocsparse_index_base_S9_
		.amdhsa_group_segment_fixed_size 256
		.amdhsa_private_segment_fixed_size 0
		.amdhsa_kernarg_size 64
		.amdhsa_user_sgpr_count 6
		.amdhsa_user_sgpr_private_segment_buffer 1
		.amdhsa_user_sgpr_dispatch_ptr 0
		.amdhsa_user_sgpr_queue_ptr 0
		.amdhsa_user_sgpr_kernarg_segment_ptr 1
		.amdhsa_user_sgpr_dispatch_id 0
		.amdhsa_user_sgpr_flat_scratch_init 0
		.amdhsa_user_sgpr_private_segment_size 0
		.amdhsa_uses_dynamic_stack 0
		.amdhsa_system_sgpr_private_segment_wavefront_offset 0
		.amdhsa_system_sgpr_workgroup_id_x 1
		.amdhsa_system_sgpr_workgroup_id_y 0
		.amdhsa_system_sgpr_workgroup_id_z 0
		.amdhsa_system_sgpr_workgroup_info 0
		.amdhsa_system_vgpr_workitem_id 0
		.amdhsa_next_free_vgpr 28
		.amdhsa_next_free_sgpr 23
		.amdhsa_reserve_vcc 1
		.amdhsa_reserve_flat_scratch 0
		.amdhsa_float_round_mode_32 0
		.amdhsa_float_round_mode_16_64 0
		.amdhsa_float_denorm_mode_32 3
		.amdhsa_float_denorm_mode_16_64 3
		.amdhsa_dx10_clamp 1
		.amdhsa_ieee_mode 1
		.amdhsa_fp16_overflow 0
		.amdhsa_exception_fp_ieee_invalid_op 0
		.amdhsa_exception_fp_denorm_src 0
		.amdhsa_exception_fp_ieee_div_zero 0
		.amdhsa_exception_fp_ieee_overflow 0
		.amdhsa_exception_fp_ieee_underflow 0
		.amdhsa_exception_fp_ieee_inexact 0
		.amdhsa_exception_int_div_zero 0
	.end_amdhsa_kernel
	.section	.text._ZN9rocsparseL28csrgeam_nnz_multipass_deviceILj256ELj32ElllEEvllPKT1_PKT2_S3_S6_PT3_21rocsparse_index_base_S9_,"axG",@progbits,_ZN9rocsparseL28csrgeam_nnz_multipass_deviceILj256ELj32ElllEEvllPKT1_PKT2_S3_S6_PT3_21rocsparse_index_base_S9_,comdat
.Lfunc_end13:
	.size	_ZN9rocsparseL28csrgeam_nnz_multipass_deviceILj256ELj32ElllEEvllPKT1_PKT2_S3_S6_PT3_21rocsparse_index_base_S9_, .Lfunc_end13-_ZN9rocsparseL28csrgeam_nnz_multipass_deviceILj256ELj32ElllEEvllPKT1_PKT2_S3_S6_PT3_21rocsparse_index_base_S9_
                                        ; -- End function
	.set _ZN9rocsparseL28csrgeam_nnz_multipass_deviceILj256ELj32ElllEEvllPKT1_PKT2_S3_S6_PT3_21rocsparse_index_base_S9_.num_vgpr, 28
	.set _ZN9rocsparseL28csrgeam_nnz_multipass_deviceILj256ELj32ElllEEvllPKT1_PKT2_S3_S6_PT3_21rocsparse_index_base_S9_.num_agpr, 0
	.set _ZN9rocsparseL28csrgeam_nnz_multipass_deviceILj256ELj32ElllEEvllPKT1_PKT2_S3_S6_PT3_21rocsparse_index_base_S9_.numbered_sgpr, 23
	.set _ZN9rocsparseL28csrgeam_nnz_multipass_deviceILj256ELj32ElllEEvllPKT1_PKT2_S3_S6_PT3_21rocsparse_index_base_S9_.num_named_barrier, 0
	.set _ZN9rocsparseL28csrgeam_nnz_multipass_deviceILj256ELj32ElllEEvllPKT1_PKT2_S3_S6_PT3_21rocsparse_index_base_S9_.private_seg_size, 0
	.set _ZN9rocsparseL28csrgeam_nnz_multipass_deviceILj256ELj32ElllEEvllPKT1_PKT2_S3_S6_PT3_21rocsparse_index_base_S9_.uses_vcc, 1
	.set _ZN9rocsparseL28csrgeam_nnz_multipass_deviceILj256ELj32ElllEEvllPKT1_PKT2_S3_S6_PT3_21rocsparse_index_base_S9_.uses_flat_scratch, 0
	.set _ZN9rocsparseL28csrgeam_nnz_multipass_deviceILj256ELj32ElllEEvllPKT1_PKT2_S3_S6_PT3_21rocsparse_index_base_S9_.has_dyn_sized_stack, 0
	.set _ZN9rocsparseL28csrgeam_nnz_multipass_deviceILj256ELj32ElllEEvllPKT1_PKT2_S3_S6_PT3_21rocsparse_index_base_S9_.has_recursion, 0
	.set _ZN9rocsparseL28csrgeam_nnz_multipass_deviceILj256ELj32ElllEEvllPKT1_PKT2_S3_S6_PT3_21rocsparse_index_base_S9_.has_indirect_call, 0
	.section	.AMDGPU.csdata,"",@progbits
; Kernel info:
; codeLenInByte = 1188
; TotalNumSgprs: 27
; NumVgprs: 28
; ScratchSize: 0
; MemoryBound: 0
; FloatMode: 240
; IeeeMode: 1
; LDSByteSize: 256 bytes/workgroup (compile time only)
; SGPRBlocks: 3
; VGPRBlocks: 6
; NumSGPRsForWavesPerEU: 27
; NumVGPRsForWavesPerEU: 28
; Occupancy: 9
; WaveLimiterHint : 1
; COMPUTE_PGM_RSRC2:SCRATCH_EN: 0
; COMPUTE_PGM_RSRC2:USER_SGPR: 6
; COMPUTE_PGM_RSRC2:TRAP_HANDLER: 0
; COMPUTE_PGM_RSRC2:TGID_X_EN: 1
; COMPUTE_PGM_RSRC2:TGID_Y_EN: 0
; COMPUTE_PGM_RSRC2:TGID_Z_EN: 0
; COMPUTE_PGM_RSRC2:TIDIG_COMP_CNT: 0
	.section	.text._ZN9rocsparseL28csrgeam_nnz_multipass_deviceILj256ELj64ElliEEvllPKT1_PKT2_S3_S6_PT3_21rocsparse_index_base_S9_,"axG",@progbits,_ZN9rocsparseL28csrgeam_nnz_multipass_deviceILj256ELj64ElliEEvllPKT1_PKT2_S3_S6_PT3_21rocsparse_index_base_S9_,comdat
	.globl	_ZN9rocsparseL28csrgeam_nnz_multipass_deviceILj256ELj64ElliEEvllPKT1_PKT2_S3_S6_PT3_21rocsparse_index_base_S9_ ; -- Begin function _ZN9rocsparseL28csrgeam_nnz_multipass_deviceILj256ELj64ElliEEvllPKT1_PKT2_S3_S6_PT3_21rocsparse_index_base_S9_
	.p2align	8
	.type	_ZN9rocsparseL28csrgeam_nnz_multipass_deviceILj256ELj64ElliEEvllPKT1_PKT2_S3_S6_PT3_21rocsparse_index_base_S9_,@function
_ZN9rocsparseL28csrgeam_nnz_multipass_deviceILj256ELj64ElliEEvllPKT1_PKT2_S3_S6_PT3_21rocsparse_index_base_S9_: ; @_ZN9rocsparseL28csrgeam_nnz_multipass_deviceILj256ELj64ElliEEvllPKT1_PKT2_S3_S6_PT3_21rocsparse_index_base_S9_
; %bb.0:
	s_load_dwordx4 s[0:3], s[4:5], 0x0
	s_lshl_b32 s6, s6, 2
	v_lshrrev_b32_e32 v1, 6, v0
	s_and_b32 s6, s6, 0x3fffffc
	v_or_b32_e32 v9, s6, v1
	v_mov_b32_e32 v10, 0
	s_waitcnt lgkmcnt(0)
	v_cmp_gt_i64_e32 vcc, s[0:1], v[9:10]
	s_and_saveexec_b64 s[0:1], vcc
	s_cbranch_execz .LBB14_29
; %bb.1:
	s_load_dwordx8 s[8:15], s[4:5], 0x10
	v_lshlrev_b32_e32 v10, 3, v9
	s_load_dwordx2 s[6:7], s[4:5], 0x38
	s_waitcnt lgkmcnt(0)
	global_load_dwordx4 v[1:4], v10, s[8:9]
	global_load_dwordx4 v[5:8], v10, s[12:13]
	v_mov_b32_e32 v11, s3
	v_mov_b32_e32 v10, s2
	s_waitcnt vmcnt(1)
	v_subrev_co_u32_e32 v12, vcc, s6, v1
	v_subbrev_co_u32_e32 v13, vcc, 0, v2, vcc
	v_cmp_lt_i64_e32 vcc, v[1:2], v[3:4]
	s_and_saveexec_b64 s[0:1], vcc
	s_cbranch_execz .LBB14_3
; %bb.2:
	v_lshlrev_b64 v[1:2], 3, v[12:13]
	v_mov_b32_e32 v10, s11
	v_add_co_u32_e32 v1, vcc, s10, v1
	v_addc_co_u32_e32 v2, vcc, v10, v2, vcc
	global_load_dwordx2 v[1:2], v[1:2], off
	s_waitcnt vmcnt(0)
	v_subrev_co_u32_e32 v10, vcc, s6, v1
	v_subbrev_co_u32_e32 v11, vcc, 0, v2, vcc
.LBB14_3:
	s_or_b64 exec, exec, s[0:1]
	s_load_dwordx2 s[4:5], s[4:5], 0x30
	s_waitcnt vmcnt(0)
	v_subrev_co_u32_e32 v14, vcc, s7, v5
	v_subbrev_co_u32_e32 v15, vcc, 0, v6, vcc
	v_cmp_lt_i64_e32 vcc, v[5:6], v[7:8]
	v_mov_b32_e32 v6, s3
	s_mov_b32 s20, s7
	v_mov_b32_e32 v5, s2
	s_and_saveexec_b64 s[0:1], vcc
	s_cbranch_execz .LBB14_5
; %bb.4:
	v_lshlrev_b64 v[1:2], 3, v[14:15]
	v_mov_b32_e32 v5, s15
	v_add_co_u32_e32 v1, vcc, s14, v1
	v_addc_co_u32_e32 v2, vcc, v5, v2, vcc
	global_load_dwordx2 v[1:2], v[1:2], off
	s_waitcnt vmcnt(0)
	v_subrev_co_u32_e32 v5, vcc, s20, v1
	v_subbrev_co_u32_e32 v6, vcc, 0, v2, vcc
.LBB14_5:
	s_or_b64 exec, exec, s[0:1]
	v_subrev_co_u32_e32 v1, vcc, s6, v3
	v_subbrev_co_u32_e32 v2, vcc, 0, v4, vcc
	v_subrev_co_u32_e32 v3, vcc, s20, v7
	v_subbrev_co_u32_e32 v4, vcc, 0, v8, vcc
	v_cmp_lt_i64_e32 vcc, v[5:6], v[10:11]
	v_and_b32_e32 v20, 0xc0, v0
	v_and_b32_e32 v0, 63, v0
	v_cndmask_b32_e32 v11, v11, v6, vcc
	v_cndmask_b32_e32 v10, v10, v5, vcc
	v_add_co_u32_e32 v5, vcc, v12, v0
	v_mbcnt_lo_u32_b32 v12, -1, 0
	v_addc_co_u32_e32 v6, vcc, 0, v13, vcc
	v_mbcnt_hi_u32_b32 v12, -1, v12
	v_add_co_u32_e32 v7, vcc, v14, v0
	v_and_b32_e32 v13, 64, v12
	v_addc_co_u32_e32 v8, vcc, 0, v15, vcc
	v_add_u32_e32 v13, 64, v13
	v_xor_b32_e32 v14, 32, v12
	v_xor_b32_e32 v15, 16, v12
	v_cmp_lt_i32_e32 vcc, v14, v13
	v_xor_b32_e32 v16, 8, v12
	v_cndmask_b32_e32 v14, v12, v14, vcc
	v_cmp_lt_i32_e32 vcc, v15, v13
	v_xor_b32_e32 v17, 4, v12
	v_lshlrev_b32_e32 v22, 2, v14
	v_cndmask_b32_e32 v14, v12, v15, vcc
	v_cmp_lt_i32_e32 vcc, v16, v13
	v_xor_b32_e32 v18, 2, v12
	v_lshlrev_b32_e32 v23, 2, v14
	;; [unrolled: 4-line block ×3, first 2 shown]
	v_cndmask_b32_e32 v14, v12, v17, vcc
	v_cmp_lt_i32_e32 vcc, v18, v13
	v_lshlrev_b32_e32 v25, 2, v14
	v_cndmask_b32_e32 v14, v12, v18, vcc
	v_cmp_lt_i32_e32 vcc, v19, v13
	v_cndmask_b32_e32 v12, v12, v19, vcc
	v_mov_b32_e32 v21, 0
	s_mov_b32 s7, 0
	v_lshlrev_b32_e32 v26, 2, v14
	v_lshlrev_b32_e32 v27, 2, v12
	s_mov_b64 s[8:9], 0
	v_mov_b32_e32 v28, 1
	s_branch .LBB14_8
.LBB14_6:                               ;   in Loop: Header=BB14_8 Depth=1
	s_or_b64 exec, exec, s[16:17]
.LBB14_7:                               ;   in Loop: Header=BB14_8 Depth=1
	s_or_b64 exec, exec, s[12:13]
	ds_bpermute_b32 v10, v22, v12
	ds_bpermute_b32 v11, v22, v13
	s_waitcnt lgkmcnt(0)
	ds_read_u8 v14, v29
	v_cmp_lt_i64_e32 vcc, v[10:11], v[12:13]
	v_cndmask_b32_e32 v11, v13, v11, vcc
	v_cndmask_b32_e32 v10, v12, v10, vcc
	ds_bpermute_b32 v13, v23, v11
	ds_bpermute_b32 v12, v23, v10
	s_waitcnt lgkmcnt(0)
	v_cmp_lt_i64_e32 vcc, v[12:13], v[10:11]
	v_cndmask_b32_e32 v11, v11, v13, vcc
	v_cndmask_b32_e32 v10, v10, v12, vcc
	ds_bpermute_b32 v13, v24, v11
	ds_bpermute_b32 v12, v24, v10
	s_waitcnt lgkmcnt(0)
	;; [unrolled: 6-line block ×4, first 2 shown]
	v_cmp_lt_i64_e32 vcc, v[12:13], v[10:11]
	v_cndmask_b32_e32 v11, v11, v13, vcc
	v_cndmask_b32_e32 v10, v10, v12, vcc
	ds_bpermute_b32 v12, v27, v10
	ds_bpermute_b32 v13, v27, v11
	v_cmp_ne_u16_e32 vcc, 0, v14
	s_bcnt1_i32_b64 s0, vcc
	s_add_i32 s7, s7, s0
	s_waitcnt lgkmcnt(0)
	v_cmp_lt_i64_e32 vcc, v[12:13], v[10:11]
	v_cndmask_b32_e32 v11, v11, v13, vcc
	v_cndmask_b32_e32 v10, v10, v12, vcc
	v_cmp_le_i64_e32 vcc, s[2:3], v[10:11]
	v_mov_b32_e32 v12, s7
	s_or_b64 s[8:9], vcc, s[8:9]
	s_andn2_b64 exec, exec, s[8:9]
	s_cbranch_execz .LBB14_27
.LBB14_8:                               ; =>This Loop Header: Depth=1
                                        ;     Child Loop BB14_11 Depth 2
                                        ;     Child Loop BB14_21 Depth 2
	v_cmp_lt_i64_e32 vcc, v[5:6], v[1:2]
	v_mov_b32_e32 v13, s3
	v_add_u32_e32 v29, v20, v0
	v_mov_b32_e32 v12, s2
	ds_write_b8 v29, v21
	s_waitcnt lgkmcnt(0)
	s_and_saveexec_b64 s[12:13], vcc
	s_cbranch_execz .LBB14_18
; %bb.9:                                ;   in Loop: Header=BB14_8 Depth=1
	v_lshlrev_b64 v[12:13], 3, v[5:6]
	v_mov_b32_e32 v15, s11
	v_add_co_u32_e32 v14, vcc, s10, v12
	v_addc_co_u32_e32 v15, vcc, v15, v13, vcc
	v_mov_b32_e32 v13, s3
	s_mov_b64 s[16:17], 0
	v_mov_b32_e32 v12, s2
	s_branch .LBB14_11
.LBB14_10:                              ;   in Loop: Header=BB14_11 Depth=2
	s_or_b64 exec, exec, s[18:19]
	s_and_b64 s[0:1], exec, s[0:1]
	s_or_b64 s[16:17], s[0:1], s[16:17]
	s_andn2_b64 exec, exec, s[16:17]
	s_cbranch_execz .LBB14_17
.LBB14_11:                              ;   Parent Loop BB14_8 Depth=1
                                        ; =>  This Inner Loop Header: Depth=2
	global_load_dwordx2 v[16:17], v[14:15], off
	s_waitcnt vmcnt(0)
	v_subrev_co_u32_e32 v18, vcc, s6, v16
	v_subbrev_co_u32_e32 v19, vcc, 0, v17, vcc
	v_sub_co_u32_e32 v16, vcc, v18, v10
	v_subb_co_u32_e32 v17, vcc, v19, v11, vcc
	v_cmp_gt_i64_e32 vcc, 64, v[16:17]
	v_cmp_lt_i64_e64 s[0:1], 63, v[16:17]
	s_and_saveexec_b64 s[18:19], s[0:1]
	s_xor_b64 s[18:19], exec, s[18:19]
	s_cbranch_execnz .LBB14_14
; %bb.12:                               ;   in Loop: Header=BB14_11 Depth=2
	s_andn2_saveexec_b64 s[0:1], s[18:19]
	s_cbranch_execnz .LBB14_15
.LBB14_13:                              ;   in Loop: Header=BB14_11 Depth=2
	s_or_b64 exec, exec, s[0:1]
	s_mov_b64 s[0:1], -1
	s_and_saveexec_b64 s[18:19], vcc
	s_cbranch_execz .LBB14_10
	s_branch .LBB14_16
.LBB14_14:                              ;   in Loop: Header=BB14_11 Depth=2
	v_cmp_lt_i64_e64 s[0:1], v[18:19], v[12:13]
                                        ; implicit-def: $vgpr16
	v_cndmask_b32_e64 v13, v13, v19, s[0:1]
	v_cndmask_b32_e64 v12, v12, v18, s[0:1]
	s_andn2_saveexec_b64 s[0:1], s[18:19]
	s_cbranch_execz .LBB14_13
.LBB14_15:                              ;   in Loop: Header=BB14_11 Depth=2
	v_add_u32_e32 v16, v20, v16
	ds_write_b8 v16, v28
	s_or_b64 exec, exec, s[0:1]
	s_mov_b64 s[0:1], -1
	s_and_saveexec_b64 s[18:19], vcc
	s_cbranch_execz .LBB14_10
.LBB14_16:                              ;   in Loop: Header=BB14_11 Depth=2
	v_add_co_u32_e32 v5, vcc, 64, v5
	v_addc_co_u32_e32 v6, vcc, 0, v6, vcc
	v_cmp_ge_i64_e64 s[0:1], v[5:6], v[1:2]
	v_add_co_u32_e32 v14, vcc, 0x200, v14
	v_addc_co_u32_e32 v15, vcc, 0, v15, vcc
	s_orn2_b64 s[0:1], s[0:1], exec
	s_branch .LBB14_10
.LBB14_17:                              ;   in Loop: Header=BB14_8 Depth=1
	s_or_b64 exec, exec, s[16:17]
.LBB14_18:                              ;   in Loop: Header=BB14_8 Depth=1
	s_or_b64 exec, exec, s[12:13]
	v_cmp_lt_i64_e32 vcc, v[7:8], v[3:4]
	s_and_saveexec_b64 s[12:13], vcc
	s_cbranch_execz .LBB14_7
; %bb.19:                               ;   in Loop: Header=BB14_8 Depth=1
	v_lshlrev_b64 v[14:15], 3, v[7:8]
	v_mov_b32_e32 v16, s15
	v_add_co_u32_e32 v14, vcc, s14, v14
	v_addc_co_u32_e32 v15, vcc, v16, v15, vcc
	s_mov_b64 s[16:17], 0
	s_branch .LBB14_21
.LBB14_20:                              ;   in Loop: Header=BB14_21 Depth=2
	s_or_b64 exec, exec, s[18:19]
	s_and_b64 s[0:1], exec, s[0:1]
	s_or_b64 s[16:17], s[0:1], s[16:17]
	s_andn2_b64 exec, exec, s[16:17]
	s_cbranch_execz .LBB14_6
.LBB14_21:                              ;   Parent Loop BB14_8 Depth=1
                                        ; =>  This Inner Loop Header: Depth=2
	global_load_dwordx2 v[16:17], v[14:15], off
	s_waitcnt vmcnt(0)
	v_subrev_co_u32_e32 v18, vcc, s20, v16
	v_subbrev_co_u32_e32 v19, vcc, 0, v17, vcc
	v_sub_co_u32_e32 v16, vcc, v18, v10
	v_subb_co_u32_e32 v17, vcc, v19, v11, vcc
	v_cmp_gt_i64_e32 vcc, 64, v[16:17]
	v_cmp_lt_i64_e64 s[0:1], 63, v[16:17]
	s_and_saveexec_b64 s[18:19], s[0:1]
	s_xor_b64 s[18:19], exec, s[18:19]
	s_cbranch_execnz .LBB14_24
; %bb.22:                               ;   in Loop: Header=BB14_21 Depth=2
	s_andn2_saveexec_b64 s[0:1], s[18:19]
	s_cbranch_execnz .LBB14_25
.LBB14_23:                              ;   in Loop: Header=BB14_21 Depth=2
	s_or_b64 exec, exec, s[0:1]
	s_mov_b64 s[0:1], -1
	s_and_saveexec_b64 s[18:19], vcc
	s_cbranch_execz .LBB14_20
	s_branch .LBB14_26
.LBB14_24:                              ;   in Loop: Header=BB14_21 Depth=2
	v_cmp_lt_i64_e64 s[0:1], v[18:19], v[12:13]
                                        ; implicit-def: $vgpr16
	v_cndmask_b32_e64 v13, v13, v19, s[0:1]
	v_cndmask_b32_e64 v12, v12, v18, s[0:1]
	s_andn2_saveexec_b64 s[0:1], s[18:19]
	s_cbranch_execz .LBB14_23
.LBB14_25:                              ;   in Loop: Header=BB14_21 Depth=2
	v_add_u32_e32 v16, v20, v16
	ds_write_b8 v16, v28
	s_or_b64 exec, exec, s[0:1]
	s_mov_b64 s[0:1], -1
	s_and_saveexec_b64 s[18:19], vcc
	s_cbranch_execz .LBB14_20
.LBB14_26:                              ;   in Loop: Header=BB14_21 Depth=2
	v_add_co_u32_e32 v7, vcc, 64, v7
	v_addc_co_u32_e32 v8, vcc, 0, v8, vcc
	v_cmp_ge_i64_e64 s[0:1], v[7:8], v[3:4]
	v_add_co_u32_e32 v14, vcc, 0x200, v14
	v_addc_co_u32_e32 v15, vcc, 0, v15, vcc
	s_orn2_b64 s[0:1], s[0:1], exec
	s_branch .LBB14_20
.LBB14_27:
	s_or_b64 exec, exec, s[8:9]
	v_cmp_eq_u32_e32 vcc, 63, v0
	s_and_b64 exec, exec, vcc
	s_cbranch_execz .LBB14_29
; %bb.28:
	v_lshlrev_b32_e32 v0, 2, v9
	global_store_dword v0, v12, s[4:5]
.LBB14_29:
	s_endpgm
	.section	.rodata,"a",@progbits
	.p2align	6, 0x0
	.amdhsa_kernel _ZN9rocsparseL28csrgeam_nnz_multipass_deviceILj256ELj64ElliEEvllPKT1_PKT2_S3_S6_PT3_21rocsparse_index_base_S9_
		.amdhsa_group_segment_fixed_size 256
		.amdhsa_private_segment_fixed_size 0
		.amdhsa_kernarg_size 64
		.amdhsa_user_sgpr_count 6
		.amdhsa_user_sgpr_private_segment_buffer 1
		.amdhsa_user_sgpr_dispatch_ptr 0
		.amdhsa_user_sgpr_queue_ptr 0
		.amdhsa_user_sgpr_kernarg_segment_ptr 1
		.amdhsa_user_sgpr_dispatch_id 0
		.amdhsa_user_sgpr_flat_scratch_init 0
		.amdhsa_user_sgpr_private_segment_size 0
		.amdhsa_uses_dynamic_stack 0
		.amdhsa_system_sgpr_private_segment_wavefront_offset 0
		.amdhsa_system_sgpr_workgroup_id_x 1
		.amdhsa_system_sgpr_workgroup_id_y 0
		.amdhsa_system_sgpr_workgroup_id_z 0
		.amdhsa_system_sgpr_workgroup_info 0
		.amdhsa_system_vgpr_workitem_id 0
		.amdhsa_next_free_vgpr 30
		.amdhsa_next_free_sgpr 21
		.amdhsa_reserve_vcc 1
		.amdhsa_reserve_flat_scratch 0
		.amdhsa_float_round_mode_32 0
		.amdhsa_float_round_mode_16_64 0
		.amdhsa_float_denorm_mode_32 3
		.amdhsa_float_denorm_mode_16_64 3
		.amdhsa_dx10_clamp 1
		.amdhsa_ieee_mode 1
		.amdhsa_fp16_overflow 0
		.amdhsa_exception_fp_ieee_invalid_op 0
		.amdhsa_exception_fp_denorm_src 0
		.amdhsa_exception_fp_ieee_div_zero 0
		.amdhsa_exception_fp_ieee_overflow 0
		.amdhsa_exception_fp_ieee_underflow 0
		.amdhsa_exception_fp_ieee_inexact 0
		.amdhsa_exception_int_div_zero 0
	.end_amdhsa_kernel
	.section	.text._ZN9rocsparseL28csrgeam_nnz_multipass_deviceILj256ELj64ElliEEvllPKT1_PKT2_S3_S6_PT3_21rocsparse_index_base_S9_,"axG",@progbits,_ZN9rocsparseL28csrgeam_nnz_multipass_deviceILj256ELj64ElliEEvllPKT1_PKT2_S3_S6_PT3_21rocsparse_index_base_S9_,comdat
.Lfunc_end14:
	.size	_ZN9rocsparseL28csrgeam_nnz_multipass_deviceILj256ELj64ElliEEvllPKT1_PKT2_S3_S6_PT3_21rocsparse_index_base_S9_, .Lfunc_end14-_ZN9rocsparseL28csrgeam_nnz_multipass_deviceILj256ELj64ElliEEvllPKT1_PKT2_S3_S6_PT3_21rocsparse_index_base_S9_
                                        ; -- End function
	.set _ZN9rocsparseL28csrgeam_nnz_multipass_deviceILj256ELj64ElliEEvllPKT1_PKT2_S3_S6_PT3_21rocsparse_index_base_S9_.num_vgpr, 30
	.set _ZN9rocsparseL28csrgeam_nnz_multipass_deviceILj256ELj64ElliEEvllPKT1_PKT2_S3_S6_PT3_21rocsparse_index_base_S9_.num_agpr, 0
	.set _ZN9rocsparseL28csrgeam_nnz_multipass_deviceILj256ELj64ElliEEvllPKT1_PKT2_S3_S6_PT3_21rocsparse_index_base_S9_.numbered_sgpr, 21
	.set _ZN9rocsparseL28csrgeam_nnz_multipass_deviceILj256ELj64ElliEEvllPKT1_PKT2_S3_S6_PT3_21rocsparse_index_base_S9_.num_named_barrier, 0
	.set _ZN9rocsparseL28csrgeam_nnz_multipass_deviceILj256ELj64ElliEEvllPKT1_PKT2_S3_S6_PT3_21rocsparse_index_base_S9_.private_seg_size, 0
	.set _ZN9rocsparseL28csrgeam_nnz_multipass_deviceILj256ELj64ElliEEvllPKT1_PKT2_S3_S6_PT3_21rocsparse_index_base_S9_.uses_vcc, 1
	.set _ZN9rocsparseL28csrgeam_nnz_multipass_deviceILj256ELj64ElliEEvllPKT1_PKT2_S3_S6_PT3_21rocsparse_index_base_S9_.uses_flat_scratch, 0
	.set _ZN9rocsparseL28csrgeam_nnz_multipass_deviceILj256ELj64ElliEEvllPKT1_PKT2_S3_S6_PT3_21rocsparse_index_base_S9_.has_dyn_sized_stack, 0
	.set _ZN9rocsparseL28csrgeam_nnz_multipass_deviceILj256ELj64ElliEEvllPKT1_PKT2_S3_S6_PT3_21rocsparse_index_base_S9_.has_recursion, 0
	.set _ZN9rocsparseL28csrgeam_nnz_multipass_deviceILj256ELj64ElliEEvllPKT1_PKT2_S3_S6_PT3_21rocsparse_index_base_S9_.has_indirect_call, 0
	.section	.AMDGPU.csdata,"",@progbits
; Kernel info:
; codeLenInByte = 1232
; TotalNumSgprs: 25
; NumVgprs: 30
; ScratchSize: 0
; MemoryBound: 0
; FloatMode: 240
; IeeeMode: 1
; LDSByteSize: 256 bytes/workgroup (compile time only)
; SGPRBlocks: 3
; VGPRBlocks: 7
; NumSGPRsForWavesPerEU: 25
; NumVGPRsForWavesPerEU: 30
; Occupancy: 8
; WaveLimiterHint : 1
; COMPUTE_PGM_RSRC2:SCRATCH_EN: 0
; COMPUTE_PGM_RSRC2:USER_SGPR: 6
; COMPUTE_PGM_RSRC2:TRAP_HANDLER: 0
; COMPUTE_PGM_RSRC2:TGID_X_EN: 1
; COMPUTE_PGM_RSRC2:TGID_Y_EN: 0
; COMPUTE_PGM_RSRC2:TGID_Z_EN: 0
; COMPUTE_PGM_RSRC2:TIDIG_COMP_CNT: 0
	.section	.text._ZN9rocsparseL28csrgeam_nnz_multipass_deviceILj256ELj64ElllEEvllPKT1_PKT2_S3_S6_PT3_21rocsparse_index_base_S9_,"axG",@progbits,_ZN9rocsparseL28csrgeam_nnz_multipass_deviceILj256ELj64ElllEEvllPKT1_PKT2_S3_S6_PT3_21rocsparse_index_base_S9_,comdat
	.globl	_ZN9rocsparseL28csrgeam_nnz_multipass_deviceILj256ELj64ElllEEvllPKT1_PKT2_S3_S6_PT3_21rocsparse_index_base_S9_ ; -- Begin function _ZN9rocsparseL28csrgeam_nnz_multipass_deviceILj256ELj64ElllEEvllPKT1_PKT2_S3_S6_PT3_21rocsparse_index_base_S9_
	.p2align	8
	.type	_ZN9rocsparseL28csrgeam_nnz_multipass_deviceILj256ELj64ElllEEvllPKT1_PKT2_S3_S6_PT3_21rocsparse_index_base_S9_,@function
_ZN9rocsparseL28csrgeam_nnz_multipass_deviceILj256ELj64ElllEEvllPKT1_PKT2_S3_S6_PT3_21rocsparse_index_base_S9_: ; @_ZN9rocsparseL28csrgeam_nnz_multipass_deviceILj256ELj64ElllEEvllPKT1_PKT2_S3_S6_PT3_21rocsparse_index_base_S9_
; %bb.0:
	s_load_dwordx4 s[0:3], s[4:5], 0x0
	s_lshl_b32 s6, s6, 2
	v_lshrrev_b32_e32 v1, 6, v0
	s_and_b32 s6, s6, 0x3fffffc
	v_or_b32_e32 v1, s6, v1
	v_mov_b32_e32 v2, 0
	s_waitcnt lgkmcnt(0)
	v_cmp_gt_i64_e32 vcc, s[0:1], v[1:2]
	s_and_saveexec_b64 s[0:1], vcc
	s_cbranch_execz .LBB15_29
; %bb.1:
	s_load_dwordx8 s[8:15], s[4:5], 0x10
	v_lshlrev_b32_e32 v19, 3, v1
	s_load_dwordx2 s[6:7], s[4:5], 0x38
	v_mov_b32_e32 v10, s3
	v_mov_b32_e32 v9, s2
	s_waitcnt lgkmcnt(0)
	global_load_dwordx4 v[1:4], v19, s[8:9]
	global_load_dwordx4 v[5:8], v19, s[12:13]
	s_waitcnt vmcnt(1)
	v_subrev_co_u32_e32 v11, vcc, s6, v1
	v_subbrev_co_u32_e32 v12, vcc, 0, v2, vcc
	v_cmp_lt_i64_e32 vcc, v[1:2], v[3:4]
	s_and_saveexec_b64 s[0:1], vcc
	s_cbranch_execz .LBB15_3
; %bb.2:
	v_lshlrev_b64 v[1:2], 3, v[11:12]
	v_mov_b32_e32 v9, s11
	v_add_co_u32_e32 v1, vcc, s10, v1
	v_addc_co_u32_e32 v2, vcc, v9, v2, vcc
	global_load_dwordx2 v[1:2], v[1:2], off
	s_waitcnt vmcnt(0)
	v_subrev_co_u32_e32 v9, vcc, s6, v1
	v_subbrev_co_u32_e32 v10, vcc, 0, v2, vcc
.LBB15_3:
	s_or_b64 exec, exec, s[0:1]
	s_load_dwordx2 s[4:5], s[4:5], 0x30
	s_waitcnt vmcnt(0)
	v_subrev_co_u32_e32 v13, vcc, s7, v5
	v_subbrev_co_u32_e32 v14, vcc, 0, v6, vcc
	v_cmp_lt_i64_e32 vcc, v[5:6], v[7:8]
	v_mov_b32_e32 v6, s3
	s_mov_b32 s22, s7
	v_mov_b32_e32 v5, s2
	s_and_saveexec_b64 s[0:1], vcc
	s_cbranch_execz .LBB15_5
; %bb.4:
	v_lshlrev_b64 v[1:2], 3, v[13:14]
	v_mov_b32_e32 v5, s15
	v_add_co_u32_e32 v1, vcc, s14, v1
	v_addc_co_u32_e32 v2, vcc, v5, v2, vcc
	global_load_dwordx2 v[1:2], v[1:2], off
	s_waitcnt vmcnt(0)
	v_subrev_co_u32_e32 v5, vcc, s22, v1
	v_subbrev_co_u32_e32 v6, vcc, 0, v2, vcc
.LBB15_5:
	s_or_b64 exec, exec, s[0:1]
	v_subrev_co_u32_e32 v1, vcc, s6, v3
	v_subbrev_co_u32_e32 v2, vcc, 0, v4, vcc
	v_subrev_co_u32_e32 v3, vcc, s22, v7
	v_subbrev_co_u32_e32 v4, vcc, 0, v8, vcc
	v_cmp_lt_i64_e32 vcc, v[5:6], v[9:10]
	v_and_b32_e32 v20, 0xc0, v0
	v_and_b32_e32 v0, 63, v0
	v_cndmask_b32_e32 v10, v10, v6, vcc
	v_cndmask_b32_e32 v9, v9, v5, vcc
	v_add_co_u32_e32 v5, vcc, v11, v0
	v_mbcnt_lo_u32_b32 v11, -1, 0
	v_addc_co_u32_e32 v6, vcc, 0, v12, vcc
	v_mbcnt_hi_u32_b32 v11, -1, v11
	v_add_co_u32_e32 v7, vcc, v13, v0
	v_and_b32_e32 v12, 64, v11
	v_addc_co_u32_e32 v8, vcc, 0, v14, vcc
	v_add_u32_e32 v12, 64, v12
	v_xor_b32_e32 v13, 32, v11
	v_xor_b32_e32 v14, 16, v11
	v_cmp_lt_i32_e32 vcc, v13, v12
	v_xor_b32_e32 v15, 8, v11
	v_cndmask_b32_e32 v13, v11, v13, vcc
	v_cmp_lt_i32_e32 vcc, v14, v12
	v_xor_b32_e32 v16, 4, v11
	v_lshlrev_b32_e32 v22, 2, v13
	v_cndmask_b32_e32 v13, v11, v14, vcc
	v_cmp_lt_i32_e32 vcc, v15, v12
	v_xor_b32_e32 v17, 2, v11
	v_lshlrev_b32_e32 v23, 2, v13
	;; [unrolled: 4-line block ×3, first 2 shown]
	v_cndmask_b32_e32 v13, v11, v16, vcc
	v_cmp_lt_i32_e32 vcc, v17, v12
	v_lshlrev_b32_e32 v25, 2, v13
	v_cndmask_b32_e32 v13, v11, v17, vcc
	v_cmp_lt_i32_e32 vcc, v18, v12
	v_cndmask_b32_e32 v11, v11, v18, vcc
	v_mov_b32_e32 v21, 0
	v_lshlrev_b32_e32 v26, 2, v13
	v_lshlrev_b32_e32 v27, 2, v11
	s_mov_b64 s[8:9], 0
	v_mov_b32_e32 v28, 1
	s_mov_b64 s[12:13], 0
	s_branch .LBB15_8
.LBB15_6:                               ;   in Loop: Header=BB15_8 Depth=1
	s_or_b64 exec, exec, s[18:19]
.LBB15_7:                               ;   in Loop: Header=BB15_8 Depth=1
	s_or_b64 exec, exec, s[16:17]
	ds_bpermute_b32 v9, v22, v11
	ds_bpermute_b32 v10, v22, v12
	s_waitcnt lgkmcnt(0)
	ds_read_u8 v13, v29
	v_cmp_lt_i64_e32 vcc, v[9:10], v[11:12]
	v_cndmask_b32_e32 v10, v12, v10, vcc
	v_cndmask_b32_e32 v9, v11, v9, vcc
	ds_bpermute_b32 v12, v23, v10
	ds_bpermute_b32 v11, v23, v9
	s_waitcnt lgkmcnt(0)
	v_cmp_lt_i64_e32 vcc, v[11:12], v[9:10]
	v_cndmask_b32_e32 v10, v10, v12, vcc
	v_cndmask_b32_e32 v9, v9, v11, vcc
	ds_bpermute_b32 v12, v24, v10
	ds_bpermute_b32 v11, v24, v9
	s_waitcnt lgkmcnt(0)
	;; [unrolled: 6-line block ×4, first 2 shown]
	v_cmp_lt_i64_e32 vcc, v[11:12], v[9:10]
	v_cndmask_b32_e32 v10, v10, v12, vcc
	v_cndmask_b32_e32 v9, v9, v11, vcc
	ds_bpermute_b32 v12, v27, v10
	ds_bpermute_b32 v11, v27, v9
	v_cmp_ne_u16_e32 vcc, 0, v13
	s_bcnt1_i32_b64 s0, vcc
	s_add_u32 s12, s0, s12
	s_addc_u32 s13, 0, s13
	s_waitcnt lgkmcnt(0)
	v_cmp_lt_i64_e32 vcc, v[11:12], v[9:10]
	v_cndmask_b32_e32 v10, v10, v12, vcc
	v_cndmask_b32_e32 v9, v9, v11, vcc
	v_cmp_le_i64_e32 vcc, s[2:3], v[9:10]
	v_mov_b32_e32 v11, s12
	s_or_b64 s[8:9], vcc, s[8:9]
	v_mov_b32_e32 v12, s13
	s_andn2_b64 exec, exec, s[8:9]
	s_cbranch_execz .LBB15_27
.LBB15_8:                               ; =>This Loop Header: Depth=1
                                        ;     Child Loop BB15_11 Depth 2
                                        ;     Child Loop BB15_21 Depth 2
	v_cmp_lt_i64_e32 vcc, v[5:6], v[1:2]
	v_mov_b32_e32 v12, s3
	v_add_u32_e32 v29, v20, v0
	v_mov_b32_e32 v11, s2
	ds_write_b8 v29, v21
	s_waitcnt lgkmcnt(0)
	s_and_saveexec_b64 s[16:17], vcc
	s_cbranch_execz .LBB15_18
; %bb.9:                                ;   in Loop: Header=BB15_8 Depth=1
	v_lshlrev_b64 v[11:12], 3, v[5:6]
	v_mov_b32_e32 v14, s11
	v_add_co_u32_e32 v13, vcc, s10, v11
	v_addc_co_u32_e32 v14, vcc, v14, v12, vcc
	v_mov_b32_e32 v12, s3
	s_mov_b64 s[18:19], 0
	v_mov_b32_e32 v11, s2
	s_branch .LBB15_11
.LBB15_10:                              ;   in Loop: Header=BB15_11 Depth=2
	s_or_b64 exec, exec, s[20:21]
	s_and_b64 s[0:1], exec, s[0:1]
	s_or_b64 s[18:19], s[0:1], s[18:19]
	s_andn2_b64 exec, exec, s[18:19]
	s_cbranch_execz .LBB15_17
.LBB15_11:                              ;   Parent Loop BB15_8 Depth=1
                                        ; =>  This Inner Loop Header: Depth=2
	global_load_dwordx2 v[15:16], v[13:14], off
	s_waitcnt vmcnt(0)
	v_subrev_co_u32_e32 v17, vcc, s6, v15
	v_subbrev_co_u32_e32 v18, vcc, 0, v16, vcc
	v_sub_co_u32_e32 v15, vcc, v17, v9
	v_subb_co_u32_e32 v16, vcc, v18, v10, vcc
	v_cmp_gt_i64_e32 vcc, 64, v[15:16]
	v_cmp_lt_i64_e64 s[0:1], 63, v[15:16]
	s_and_saveexec_b64 s[20:21], s[0:1]
	s_xor_b64 s[20:21], exec, s[20:21]
	s_cbranch_execnz .LBB15_14
; %bb.12:                               ;   in Loop: Header=BB15_11 Depth=2
	s_andn2_saveexec_b64 s[0:1], s[20:21]
	s_cbranch_execnz .LBB15_15
.LBB15_13:                              ;   in Loop: Header=BB15_11 Depth=2
	s_or_b64 exec, exec, s[0:1]
	s_mov_b64 s[0:1], -1
	s_and_saveexec_b64 s[20:21], vcc
	s_cbranch_execz .LBB15_10
	s_branch .LBB15_16
.LBB15_14:                              ;   in Loop: Header=BB15_11 Depth=2
	v_cmp_lt_i64_e64 s[0:1], v[17:18], v[11:12]
                                        ; implicit-def: $vgpr15
	v_cndmask_b32_e64 v12, v12, v18, s[0:1]
	v_cndmask_b32_e64 v11, v11, v17, s[0:1]
	s_andn2_saveexec_b64 s[0:1], s[20:21]
	s_cbranch_execz .LBB15_13
.LBB15_15:                              ;   in Loop: Header=BB15_11 Depth=2
	v_add_u32_e32 v15, v20, v15
	ds_write_b8 v15, v28
	s_or_b64 exec, exec, s[0:1]
	s_mov_b64 s[0:1], -1
	s_and_saveexec_b64 s[20:21], vcc
	s_cbranch_execz .LBB15_10
.LBB15_16:                              ;   in Loop: Header=BB15_11 Depth=2
	v_add_co_u32_e32 v5, vcc, 64, v5
	v_addc_co_u32_e32 v6, vcc, 0, v6, vcc
	v_cmp_ge_i64_e64 s[0:1], v[5:6], v[1:2]
	v_add_co_u32_e32 v13, vcc, 0x200, v13
	v_addc_co_u32_e32 v14, vcc, 0, v14, vcc
	s_orn2_b64 s[0:1], s[0:1], exec
	s_branch .LBB15_10
.LBB15_17:                              ;   in Loop: Header=BB15_8 Depth=1
	s_or_b64 exec, exec, s[18:19]
.LBB15_18:                              ;   in Loop: Header=BB15_8 Depth=1
	s_or_b64 exec, exec, s[16:17]
	v_cmp_lt_i64_e32 vcc, v[7:8], v[3:4]
	s_and_saveexec_b64 s[16:17], vcc
	s_cbranch_execz .LBB15_7
; %bb.19:                               ;   in Loop: Header=BB15_8 Depth=1
	v_lshlrev_b64 v[13:14], 3, v[7:8]
	v_mov_b32_e32 v15, s15
	v_add_co_u32_e32 v13, vcc, s14, v13
	v_addc_co_u32_e32 v14, vcc, v15, v14, vcc
	s_mov_b64 s[18:19], 0
	s_branch .LBB15_21
.LBB15_20:                              ;   in Loop: Header=BB15_21 Depth=2
	s_or_b64 exec, exec, s[20:21]
	s_and_b64 s[0:1], exec, s[0:1]
	s_or_b64 s[18:19], s[0:1], s[18:19]
	s_andn2_b64 exec, exec, s[18:19]
	s_cbranch_execz .LBB15_6
.LBB15_21:                              ;   Parent Loop BB15_8 Depth=1
                                        ; =>  This Inner Loop Header: Depth=2
	global_load_dwordx2 v[15:16], v[13:14], off
	s_waitcnt vmcnt(0)
	v_subrev_co_u32_e32 v17, vcc, s22, v15
	v_subbrev_co_u32_e32 v18, vcc, 0, v16, vcc
	v_sub_co_u32_e32 v15, vcc, v17, v9
	v_subb_co_u32_e32 v16, vcc, v18, v10, vcc
	v_cmp_gt_i64_e32 vcc, 64, v[15:16]
	v_cmp_lt_i64_e64 s[0:1], 63, v[15:16]
	s_and_saveexec_b64 s[20:21], s[0:1]
	s_xor_b64 s[20:21], exec, s[20:21]
	s_cbranch_execnz .LBB15_24
; %bb.22:                               ;   in Loop: Header=BB15_21 Depth=2
	s_andn2_saveexec_b64 s[0:1], s[20:21]
	s_cbranch_execnz .LBB15_25
.LBB15_23:                              ;   in Loop: Header=BB15_21 Depth=2
	s_or_b64 exec, exec, s[0:1]
	s_mov_b64 s[0:1], -1
	s_and_saveexec_b64 s[20:21], vcc
	s_cbranch_execz .LBB15_20
	s_branch .LBB15_26
.LBB15_24:                              ;   in Loop: Header=BB15_21 Depth=2
	v_cmp_lt_i64_e64 s[0:1], v[17:18], v[11:12]
                                        ; implicit-def: $vgpr15
	v_cndmask_b32_e64 v12, v12, v18, s[0:1]
	v_cndmask_b32_e64 v11, v11, v17, s[0:1]
	s_andn2_saveexec_b64 s[0:1], s[20:21]
	s_cbranch_execz .LBB15_23
.LBB15_25:                              ;   in Loop: Header=BB15_21 Depth=2
	v_add_u32_e32 v15, v20, v15
	ds_write_b8 v15, v28
	s_or_b64 exec, exec, s[0:1]
	s_mov_b64 s[0:1], -1
	s_and_saveexec_b64 s[20:21], vcc
	s_cbranch_execz .LBB15_20
.LBB15_26:                              ;   in Loop: Header=BB15_21 Depth=2
	v_add_co_u32_e32 v7, vcc, 64, v7
	v_addc_co_u32_e32 v8, vcc, 0, v8, vcc
	v_cmp_ge_i64_e64 s[0:1], v[7:8], v[3:4]
	v_add_co_u32_e32 v13, vcc, 0x200, v13
	v_addc_co_u32_e32 v14, vcc, 0, v14, vcc
	s_orn2_b64 s[0:1], s[0:1], exec
	s_branch .LBB15_20
.LBB15_27:
	s_or_b64 exec, exec, s[8:9]
	v_cmp_eq_u32_e32 vcc, 63, v0
	s_and_b64 exec, exec, vcc
	s_cbranch_execz .LBB15_29
; %bb.28:
	global_store_dwordx2 v19, v[11:12], s[4:5]
.LBB15_29:
	s_endpgm
	.section	.rodata,"a",@progbits
	.p2align	6, 0x0
	.amdhsa_kernel _ZN9rocsparseL28csrgeam_nnz_multipass_deviceILj256ELj64ElllEEvllPKT1_PKT2_S3_S6_PT3_21rocsparse_index_base_S9_
		.amdhsa_group_segment_fixed_size 256
		.amdhsa_private_segment_fixed_size 0
		.amdhsa_kernarg_size 64
		.amdhsa_user_sgpr_count 6
		.amdhsa_user_sgpr_private_segment_buffer 1
		.amdhsa_user_sgpr_dispatch_ptr 0
		.amdhsa_user_sgpr_queue_ptr 0
		.amdhsa_user_sgpr_kernarg_segment_ptr 1
		.amdhsa_user_sgpr_dispatch_id 0
		.amdhsa_user_sgpr_flat_scratch_init 0
		.amdhsa_user_sgpr_private_segment_size 0
		.amdhsa_uses_dynamic_stack 0
		.amdhsa_system_sgpr_private_segment_wavefront_offset 0
		.amdhsa_system_sgpr_workgroup_id_x 1
		.amdhsa_system_sgpr_workgroup_id_y 0
		.amdhsa_system_sgpr_workgroup_id_z 0
		.amdhsa_system_sgpr_workgroup_info 0
		.amdhsa_system_vgpr_workitem_id 0
		.amdhsa_next_free_vgpr 30
		.amdhsa_next_free_sgpr 23
		.amdhsa_reserve_vcc 1
		.amdhsa_reserve_flat_scratch 0
		.amdhsa_float_round_mode_32 0
		.amdhsa_float_round_mode_16_64 0
		.amdhsa_float_denorm_mode_32 3
		.amdhsa_float_denorm_mode_16_64 3
		.amdhsa_dx10_clamp 1
		.amdhsa_ieee_mode 1
		.amdhsa_fp16_overflow 0
		.amdhsa_exception_fp_ieee_invalid_op 0
		.amdhsa_exception_fp_denorm_src 0
		.amdhsa_exception_fp_ieee_div_zero 0
		.amdhsa_exception_fp_ieee_overflow 0
		.amdhsa_exception_fp_ieee_underflow 0
		.amdhsa_exception_fp_ieee_inexact 0
		.amdhsa_exception_int_div_zero 0
	.end_amdhsa_kernel
	.section	.text._ZN9rocsparseL28csrgeam_nnz_multipass_deviceILj256ELj64ElllEEvllPKT1_PKT2_S3_S6_PT3_21rocsparse_index_base_S9_,"axG",@progbits,_ZN9rocsparseL28csrgeam_nnz_multipass_deviceILj256ELj64ElllEEvllPKT1_PKT2_S3_S6_PT3_21rocsparse_index_base_S9_,comdat
.Lfunc_end15:
	.size	_ZN9rocsparseL28csrgeam_nnz_multipass_deviceILj256ELj64ElllEEvllPKT1_PKT2_S3_S6_PT3_21rocsparse_index_base_S9_, .Lfunc_end15-_ZN9rocsparseL28csrgeam_nnz_multipass_deviceILj256ELj64ElllEEvllPKT1_PKT2_S3_S6_PT3_21rocsparse_index_base_S9_
                                        ; -- End function
	.set _ZN9rocsparseL28csrgeam_nnz_multipass_deviceILj256ELj64ElllEEvllPKT1_PKT2_S3_S6_PT3_21rocsparse_index_base_S9_.num_vgpr, 30
	.set _ZN9rocsparseL28csrgeam_nnz_multipass_deviceILj256ELj64ElllEEvllPKT1_PKT2_S3_S6_PT3_21rocsparse_index_base_S9_.num_agpr, 0
	.set _ZN9rocsparseL28csrgeam_nnz_multipass_deviceILj256ELj64ElllEEvllPKT1_PKT2_S3_S6_PT3_21rocsparse_index_base_S9_.numbered_sgpr, 23
	.set _ZN9rocsparseL28csrgeam_nnz_multipass_deviceILj256ELj64ElllEEvllPKT1_PKT2_S3_S6_PT3_21rocsparse_index_base_S9_.num_named_barrier, 0
	.set _ZN9rocsparseL28csrgeam_nnz_multipass_deviceILj256ELj64ElllEEvllPKT1_PKT2_S3_S6_PT3_21rocsparse_index_base_S9_.private_seg_size, 0
	.set _ZN9rocsparseL28csrgeam_nnz_multipass_deviceILj256ELj64ElllEEvllPKT1_PKT2_S3_S6_PT3_21rocsparse_index_base_S9_.uses_vcc, 1
	.set _ZN9rocsparseL28csrgeam_nnz_multipass_deviceILj256ELj64ElllEEvllPKT1_PKT2_S3_S6_PT3_21rocsparse_index_base_S9_.uses_flat_scratch, 0
	.set _ZN9rocsparseL28csrgeam_nnz_multipass_deviceILj256ELj64ElllEEvllPKT1_PKT2_S3_S6_PT3_21rocsparse_index_base_S9_.has_dyn_sized_stack, 0
	.set _ZN9rocsparseL28csrgeam_nnz_multipass_deviceILj256ELj64ElllEEvllPKT1_PKT2_S3_S6_PT3_21rocsparse_index_base_S9_.has_recursion, 0
	.set _ZN9rocsparseL28csrgeam_nnz_multipass_deviceILj256ELj64ElllEEvllPKT1_PKT2_S3_S6_PT3_21rocsparse_index_base_S9_.has_indirect_call, 0
	.section	.AMDGPU.csdata,"",@progbits
; Kernel info:
; codeLenInByte = 1236
; TotalNumSgprs: 27
; NumVgprs: 30
; ScratchSize: 0
; MemoryBound: 0
; FloatMode: 240
; IeeeMode: 1
; LDSByteSize: 256 bytes/workgroup (compile time only)
; SGPRBlocks: 3
; VGPRBlocks: 7
; NumSGPRsForWavesPerEU: 27
; NumVGPRsForWavesPerEU: 30
; Occupancy: 8
; WaveLimiterHint : 1
; COMPUTE_PGM_RSRC2:SCRATCH_EN: 0
; COMPUTE_PGM_RSRC2:USER_SGPR: 6
; COMPUTE_PGM_RSRC2:TRAP_HANDLER: 0
; COMPUTE_PGM_RSRC2:TGID_X_EN: 1
; COMPUTE_PGM_RSRC2:TGID_Y_EN: 0
; COMPUTE_PGM_RSRC2:TGID_Z_EN: 0
; COMPUTE_PGM_RSRC2:TIDIG_COMP_CNT: 0
	.section	.AMDGPU.gpr_maximums,"",@progbits
	.set amdgpu.max_num_vgpr, 0
	.set amdgpu.max_num_agpr, 0
	.set amdgpu.max_num_sgpr, 0
	.section	.AMDGPU.csdata,"",@progbits
	.type	__hip_cuid_e93ef7ccf9ea60f6,@object ; @__hip_cuid_e93ef7ccf9ea60f6
	.section	.bss,"aw",@nobits
	.globl	__hip_cuid_e93ef7ccf9ea60f6
__hip_cuid_e93ef7ccf9ea60f6:
	.byte	0                               ; 0x0
	.size	__hip_cuid_e93ef7ccf9ea60f6, 1

	.ident	"AMD clang version 22.0.0git (https://github.com/RadeonOpenCompute/llvm-project roc-7.2.4 26084 f58b06dce1f9c15707c5f808fd002e18c2accf7e)"
	.section	".note.GNU-stack","",@progbits
	.addrsig
	.addrsig_sym __hip_cuid_e93ef7ccf9ea60f6
	.amdgpu_metadata
---
amdhsa.kernels:
  - .args:
      - .offset:         0
        .size:           8
        .value_kind:     by_value
      - .offset:         8
        .size:           8
        .value_kind:     by_value
      - .actual_access:  read_only
        .address_space:  global
        .offset:         16
        .size:           8
        .value_kind:     global_buffer
      - .actual_access:  read_only
        .address_space:  global
        .offset:         24
        .size:           8
        .value_kind:     global_buffer
      - .actual_access:  read_only
        .address_space:  global
        .offset:         32
        .size:           8
        .value_kind:     global_buffer
      - .actual_access:  read_only
        .address_space:  global
        .offset:         40
        .size:           8
        .value_kind:     global_buffer
      - .actual_access:  write_only
        .address_space:  global
        .offset:         48
        .size:           8
        .value_kind:     global_buffer
      - .offset:         56
        .size:           4
        .value_kind:     by_value
      - .offset:         60
        .size:           4
        .value_kind:     by_value
    .group_segment_fixed_size: 256
    .kernarg_segment_align: 8
    .kernarg_segment_size: 64
    .language:       OpenCL C
    .language_version:
      - 2
      - 0
    .max_flat_workgroup_size: 256
    .name:           _ZN9rocsparseL28csrgeam_nnz_multipass_deviceILj256ELj32EiiiEEvllPKT1_PKT2_S3_S6_PT3_21rocsparse_index_base_S9_
    .private_segment_fixed_size: 0
    .sgpr_count:     25
    .sgpr_spill_count: 0
    .symbol:         _ZN9rocsparseL28csrgeam_nnz_multipass_deviceILj256ELj32EiiiEEvllPKT1_PKT2_S3_S6_PT3_21rocsparse_index_base_S9_.kd
    .uniform_work_group_size: 1
    .uses_dynamic_stack: false
    .vgpr_count:     22
    .vgpr_spill_count: 0
    .wavefront_size: 64
  - .args:
      - .offset:         0
        .size:           8
        .value_kind:     by_value
      - .offset:         8
        .size:           8
        .value_kind:     by_value
      - .actual_access:  read_only
        .address_space:  global
        .offset:         16
        .size:           8
        .value_kind:     global_buffer
      - .actual_access:  read_only
        .address_space:  global
        .offset:         24
        .size:           8
        .value_kind:     global_buffer
      - .actual_access:  read_only
        .address_space:  global
        .offset:         32
        .size:           8
        .value_kind:     global_buffer
      - .actual_access:  read_only
        .address_space:  global
        .offset:         40
        .size:           8
        .value_kind:     global_buffer
      - .actual_access:  write_only
        .address_space:  global
        .offset:         48
        .size:           8
        .value_kind:     global_buffer
      - .offset:         56
        .size:           4
        .value_kind:     by_value
      - .offset:         60
        .size:           4
        .value_kind:     by_value
    .group_segment_fixed_size: 256
    .kernarg_segment_align: 8
    .kernarg_segment_size: 64
    .language:       OpenCL C
    .language_version:
      - 2
      - 0
    .max_flat_workgroup_size: 256
    .name:           _ZN9rocsparseL28csrgeam_nnz_multipass_deviceILj256ELj32EiilEEvllPKT1_PKT2_S3_S6_PT3_21rocsparse_index_base_S9_
    .private_segment_fixed_size: 0
    .sgpr_count:     26
    .sgpr_spill_count: 0
    .symbol:         _ZN9rocsparseL28csrgeam_nnz_multipass_deviceILj256ELj32EiilEEvllPKT1_PKT2_S3_S6_PT3_21rocsparse_index_base_S9_.kd
    .uniform_work_group_size: 1
    .uses_dynamic_stack: false
    .vgpr_count:     22
    .vgpr_spill_count: 0
    .wavefront_size: 64
  - .args:
      - .offset:         0
        .size:           8
        .value_kind:     by_value
      - .offset:         8
        .size:           8
        .value_kind:     by_value
      - .actual_access:  read_only
        .address_space:  global
        .offset:         16
        .size:           8
        .value_kind:     global_buffer
      - .actual_access:  read_only
        .address_space:  global
        .offset:         24
        .size:           8
        .value_kind:     global_buffer
      - .actual_access:  read_only
        .address_space:  global
        .offset:         32
        .size:           8
        .value_kind:     global_buffer
      - .actual_access:  read_only
        .address_space:  global
        .offset:         40
        .size:           8
        .value_kind:     global_buffer
      - .actual_access:  write_only
        .address_space:  global
        .offset:         48
        .size:           8
        .value_kind:     global_buffer
      - .offset:         56
        .size:           4
        .value_kind:     by_value
      - .offset:         60
        .size:           4
        .value_kind:     by_value
    .group_segment_fixed_size: 256
    .kernarg_segment_align: 8
    .kernarg_segment_size: 64
    .language:       OpenCL C
    .language_version:
      - 2
      - 0
    .max_flat_workgroup_size: 256
    .name:           _ZN9rocsparseL28csrgeam_nnz_multipass_deviceILj256ELj64EiiiEEvllPKT1_PKT2_S3_S6_PT3_21rocsparse_index_base_S9_
    .private_segment_fixed_size: 0
    .sgpr_count:     25
    .sgpr_spill_count: 0
    .symbol:         _ZN9rocsparseL28csrgeam_nnz_multipass_deviceILj256ELj64EiiiEEvllPKT1_PKT2_S3_S6_PT3_21rocsparse_index_base_S9_.kd
    .uniform_work_group_size: 1
    .uses_dynamic_stack: false
    .vgpr_count:     23
    .vgpr_spill_count: 0
    .wavefront_size: 64
  - .args:
      - .offset:         0
        .size:           8
        .value_kind:     by_value
      - .offset:         8
        .size:           8
        .value_kind:     by_value
      - .actual_access:  read_only
        .address_space:  global
        .offset:         16
        .size:           8
        .value_kind:     global_buffer
      - .actual_access:  read_only
        .address_space:  global
        .offset:         24
        .size:           8
        .value_kind:     global_buffer
      - .actual_access:  read_only
        .address_space:  global
        .offset:         32
        .size:           8
        .value_kind:     global_buffer
      - .actual_access:  read_only
        .address_space:  global
        .offset:         40
        .size:           8
        .value_kind:     global_buffer
      - .actual_access:  write_only
        .address_space:  global
        .offset:         48
        .size:           8
        .value_kind:     global_buffer
      - .offset:         56
        .size:           4
        .value_kind:     by_value
      - .offset:         60
        .size:           4
        .value_kind:     by_value
    .group_segment_fixed_size: 256
    .kernarg_segment_align: 8
    .kernarg_segment_size: 64
    .language:       OpenCL C
    .language_version:
      - 2
      - 0
    .max_flat_workgroup_size: 256
    .name:           _ZN9rocsparseL28csrgeam_nnz_multipass_deviceILj256ELj64EiilEEvllPKT1_PKT2_S3_S6_PT3_21rocsparse_index_base_S9_
    .private_segment_fixed_size: 0
    .sgpr_count:     26
    .sgpr_spill_count: 0
    .symbol:         _ZN9rocsparseL28csrgeam_nnz_multipass_deviceILj256ELj64EiilEEvllPKT1_PKT2_S3_S6_PT3_21rocsparse_index_base_S9_.kd
    .uniform_work_group_size: 1
    .uses_dynamic_stack: false
    .vgpr_count:     23
    .vgpr_spill_count: 0
    .wavefront_size: 64
  - .args:
      - .offset:         0
        .size:           8
        .value_kind:     by_value
      - .address_space:  global
        .offset:         8
        .size:           8
        .value_kind:     global_buffer
      - .offset:         16
        .size:           4
        .value_kind:     by_value
    .group_segment_fixed_size: 0
    .kernarg_segment_align: 8
    .kernarg_segment_size: 20
    .language:       OpenCL C
    .language_version:
      - 2
      - 0
    .max_flat_workgroup_size: 256
    .name:           _ZN9rocsparseL21csrgeam_check_row_ptrILj256EilEEvT1_PT0_21rocsparse_index_base_
    .private_segment_fixed_size: 0
    .sgpr_count:     11
    .sgpr_spill_count: 0
    .symbol:         _ZN9rocsparseL21csrgeam_check_row_ptrILj256EilEEvT1_PT0_21rocsparse_index_base_.kd
    .uniform_work_group_size: 1
    .uses_dynamic_stack: false
    .vgpr_count:     3
    .vgpr_spill_count: 0
    .wavefront_size: 64
  - .args:
      - .address_space:  global
        .offset:         0
        .size:           8
        .value_kind:     global_buffer
    .group_segment_fixed_size: 0
    .kernarg_segment_align: 8
    .kernarg_segment_size: 8
    .language:       OpenCL C
    .language_version:
      - 2
      - 0
    .max_flat_workgroup_size: 1
    .name:           _ZN9rocsparseL18csrgeam_index_baseILj1EiEEvPT0_
    .private_segment_fixed_size: 0
    .sgpr_count:     10
    .sgpr_spill_count: 0
    .symbol:         _ZN9rocsparseL18csrgeam_index_baseILj1EiEEvPT0_.kd
    .uniform_work_group_size: 1
    .uses_dynamic_stack: false
    .vgpr_count:     2
    .vgpr_spill_count: 0
    .wavefront_size: 64
  - .args:
      - .offset:         0
        .size:           8
        .value_kind:     by_value
      - .offset:         8
        .size:           8
        .value_kind:     by_value
      - .actual_access:  read_only
        .address_space:  global
        .offset:         16
        .size:           8
        .value_kind:     global_buffer
      - .actual_access:  read_only
        .address_space:  global
        .offset:         24
        .size:           8
        .value_kind:     global_buffer
      - .actual_access:  read_only
        .address_space:  global
        .offset:         32
        .size:           8
        .value_kind:     global_buffer
      - .actual_access:  read_only
        .address_space:  global
        .offset:         40
        .size:           8
        .value_kind:     global_buffer
      - .actual_access:  write_only
        .address_space:  global
        .offset:         48
        .size:           8
        .value_kind:     global_buffer
      - .offset:         56
        .size:           4
        .value_kind:     by_value
      - .offset:         60
        .size:           4
        .value_kind:     by_value
    .group_segment_fixed_size: 256
    .kernarg_segment_align: 8
    .kernarg_segment_size: 64
    .language:       OpenCL C
    .language_version:
      - 2
      - 0
    .max_flat_workgroup_size: 256
    .name:           _ZN9rocsparseL28csrgeam_nnz_multipass_deviceILj256ELj32EliiEEvllPKT1_PKT2_S3_S6_PT3_21rocsparse_index_base_S9_
    .private_segment_fixed_size: 0
    .sgpr_count:     25
    .sgpr_spill_count: 0
    .symbol:         _ZN9rocsparseL28csrgeam_nnz_multipass_deviceILj256ELj32EliiEEvllPKT1_PKT2_S3_S6_PT3_21rocsparse_index_base_S9_.kd
    .uniform_work_group_size: 1
    .uses_dynamic_stack: false
    .vgpr_count:     26
    .vgpr_spill_count: 0
    .wavefront_size: 64
  - .args:
      - .offset:         0
        .size:           8
        .value_kind:     by_value
      - .offset:         8
        .size:           8
        .value_kind:     by_value
      - .actual_access:  read_only
        .address_space:  global
        .offset:         16
        .size:           8
        .value_kind:     global_buffer
      - .actual_access:  read_only
        .address_space:  global
        .offset:         24
        .size:           8
        .value_kind:     global_buffer
      - .actual_access:  read_only
        .address_space:  global
        .offset:         32
        .size:           8
        .value_kind:     global_buffer
      - .actual_access:  read_only
        .address_space:  global
        .offset:         40
        .size:           8
        .value_kind:     global_buffer
      - .actual_access:  write_only
        .address_space:  global
        .offset:         48
        .size:           8
        .value_kind:     global_buffer
      - .offset:         56
        .size:           4
        .value_kind:     by_value
      - .offset:         60
        .size:           4
        .value_kind:     by_value
    .group_segment_fixed_size: 256
    .kernarg_segment_align: 8
    .kernarg_segment_size: 64
    .language:       OpenCL C
    .language_version:
      - 2
      - 0
    .max_flat_workgroup_size: 256
    .name:           _ZN9rocsparseL28csrgeam_nnz_multipass_deviceILj256ELj32ElilEEvllPKT1_PKT2_S3_S6_PT3_21rocsparse_index_base_S9_
    .private_segment_fixed_size: 0
    .sgpr_count:     26
    .sgpr_spill_count: 0
    .symbol:         _ZN9rocsparseL28csrgeam_nnz_multipass_deviceILj256ELj32ElilEEvllPKT1_PKT2_S3_S6_PT3_21rocsparse_index_base_S9_.kd
    .uniform_work_group_size: 1
    .uses_dynamic_stack: false
    .vgpr_count:     26
    .vgpr_spill_count: 0
    .wavefront_size: 64
  - .args:
      - .offset:         0
        .size:           8
        .value_kind:     by_value
      - .offset:         8
        .size:           8
        .value_kind:     by_value
      - .actual_access:  read_only
        .address_space:  global
        .offset:         16
        .size:           8
        .value_kind:     global_buffer
      - .actual_access:  read_only
        .address_space:  global
        .offset:         24
        .size:           8
        .value_kind:     global_buffer
      - .actual_access:  read_only
        .address_space:  global
        .offset:         32
        .size:           8
        .value_kind:     global_buffer
      - .actual_access:  read_only
        .address_space:  global
        .offset:         40
        .size:           8
        .value_kind:     global_buffer
      - .actual_access:  write_only
        .address_space:  global
        .offset:         48
        .size:           8
        .value_kind:     global_buffer
      - .offset:         56
        .size:           4
        .value_kind:     by_value
      - .offset:         60
        .size:           4
        .value_kind:     by_value
    .group_segment_fixed_size: 256
    .kernarg_segment_align: 8
    .kernarg_segment_size: 64
    .language:       OpenCL C
    .language_version:
      - 2
      - 0
    .max_flat_workgroup_size: 256
    .name:           _ZN9rocsparseL28csrgeam_nnz_multipass_deviceILj256ELj64EliiEEvllPKT1_PKT2_S3_S6_PT3_21rocsparse_index_base_S9_
    .private_segment_fixed_size: 0
    .sgpr_count:     25
    .sgpr_spill_count: 0
    .symbol:         _ZN9rocsparseL28csrgeam_nnz_multipass_deviceILj256ELj64EliiEEvllPKT1_PKT2_S3_S6_PT3_21rocsparse_index_base_S9_.kd
    .uniform_work_group_size: 1
    .uses_dynamic_stack: false
    .vgpr_count:     27
    .vgpr_spill_count: 0
    .wavefront_size: 64
  - .args:
      - .offset:         0
        .size:           8
        .value_kind:     by_value
      - .offset:         8
        .size:           8
        .value_kind:     by_value
      - .actual_access:  read_only
        .address_space:  global
        .offset:         16
        .size:           8
        .value_kind:     global_buffer
      - .actual_access:  read_only
        .address_space:  global
        .offset:         24
        .size:           8
        .value_kind:     global_buffer
      - .actual_access:  read_only
        .address_space:  global
        .offset:         32
        .size:           8
        .value_kind:     global_buffer
      - .actual_access:  read_only
        .address_space:  global
        .offset:         40
        .size:           8
        .value_kind:     global_buffer
      - .actual_access:  write_only
        .address_space:  global
        .offset:         48
        .size:           8
        .value_kind:     global_buffer
      - .offset:         56
        .size:           4
        .value_kind:     by_value
      - .offset:         60
        .size:           4
        .value_kind:     by_value
    .group_segment_fixed_size: 256
    .kernarg_segment_align: 8
    .kernarg_segment_size: 64
    .language:       OpenCL C
    .language_version:
      - 2
      - 0
    .max_flat_workgroup_size: 256
    .name:           _ZN9rocsparseL28csrgeam_nnz_multipass_deviceILj256ELj64ElilEEvllPKT1_PKT2_S3_S6_PT3_21rocsparse_index_base_S9_
    .private_segment_fixed_size: 0
    .sgpr_count:     26
    .sgpr_spill_count: 0
    .symbol:         _ZN9rocsparseL28csrgeam_nnz_multipass_deviceILj256ELj64ElilEEvllPKT1_PKT2_S3_S6_PT3_21rocsparse_index_base_S9_.kd
    .uniform_work_group_size: 1
    .uses_dynamic_stack: false
    .vgpr_count:     27
    .vgpr_spill_count: 0
    .wavefront_size: 64
  - .args:
      - .offset:         0
        .size:           8
        .value_kind:     by_value
      - .address_space:  global
        .offset:         8
        .size:           8
        .value_kind:     global_buffer
      - .offset:         16
        .size:           4
        .value_kind:     by_value
    .group_segment_fixed_size: 0
    .kernarg_segment_align: 8
    .kernarg_segment_size: 20
    .language:       OpenCL C
    .language_version:
      - 2
      - 0
    .max_flat_workgroup_size: 256
    .name:           _ZN9rocsparseL21csrgeam_check_row_ptrILj256EllEEvT1_PT0_21rocsparse_index_base_
    .private_segment_fixed_size: 0
    .sgpr_count:     12
    .sgpr_spill_count: 0
    .symbol:         _ZN9rocsparseL21csrgeam_check_row_ptrILj256EllEEvT1_PT0_21rocsparse_index_base_.kd
    .uniform_work_group_size: 1
    .uses_dynamic_stack: false
    .vgpr_count:     3
    .vgpr_spill_count: 0
    .wavefront_size: 64
  - .args:
      - .address_space:  global
        .offset:         0
        .size:           8
        .value_kind:     global_buffer
    .group_segment_fixed_size: 0
    .kernarg_segment_align: 8
    .kernarg_segment_size: 8
    .language:       OpenCL C
    .language_version:
      - 2
      - 0
    .max_flat_workgroup_size: 1
    .name:           _ZN9rocsparseL18csrgeam_index_baseILj1ElEEvPT0_
    .private_segment_fixed_size: 0
    .sgpr_count:     10
    .sgpr_spill_count: 0
    .symbol:         _ZN9rocsparseL18csrgeam_index_baseILj1ElEEvPT0_.kd
    .uniform_work_group_size: 1
    .uses_dynamic_stack: false
    .vgpr_count:     3
    .vgpr_spill_count: 0
    .wavefront_size: 64
  - .args:
      - .offset:         0
        .size:           8
        .value_kind:     by_value
      - .offset:         8
        .size:           8
        .value_kind:     by_value
      - .actual_access:  read_only
        .address_space:  global
        .offset:         16
        .size:           8
        .value_kind:     global_buffer
      - .actual_access:  read_only
        .address_space:  global
        .offset:         24
        .size:           8
        .value_kind:     global_buffer
      - .actual_access:  read_only
        .address_space:  global
        .offset:         32
        .size:           8
        .value_kind:     global_buffer
      - .actual_access:  read_only
        .address_space:  global
        .offset:         40
        .size:           8
        .value_kind:     global_buffer
      - .actual_access:  write_only
        .address_space:  global
        .offset:         48
        .size:           8
        .value_kind:     global_buffer
      - .offset:         56
        .size:           4
        .value_kind:     by_value
      - .offset:         60
        .size:           4
        .value_kind:     by_value
    .group_segment_fixed_size: 256
    .kernarg_segment_align: 8
    .kernarg_segment_size: 64
    .language:       OpenCL C
    .language_version:
      - 2
      - 0
    .max_flat_workgroup_size: 256
    .name:           _ZN9rocsparseL28csrgeam_nnz_multipass_deviceILj256ELj32ElliEEvllPKT1_PKT2_S3_S6_PT3_21rocsparse_index_base_S9_
    .private_segment_fixed_size: 0
    .sgpr_count:     25
    .sgpr_spill_count: 0
    .symbol:         _ZN9rocsparseL28csrgeam_nnz_multipass_deviceILj256ELj32ElliEEvllPKT1_PKT2_S3_S6_PT3_21rocsparse_index_base_S9_.kd
    .uniform_work_group_size: 1
    .uses_dynamic_stack: false
    .vgpr_count:     28
    .vgpr_spill_count: 0
    .wavefront_size: 64
  - .args:
      - .offset:         0
        .size:           8
        .value_kind:     by_value
      - .offset:         8
        .size:           8
        .value_kind:     by_value
      - .actual_access:  read_only
        .address_space:  global
        .offset:         16
        .size:           8
        .value_kind:     global_buffer
      - .actual_access:  read_only
        .address_space:  global
        .offset:         24
        .size:           8
        .value_kind:     global_buffer
      - .actual_access:  read_only
        .address_space:  global
        .offset:         32
        .size:           8
        .value_kind:     global_buffer
      - .actual_access:  read_only
        .address_space:  global
        .offset:         40
        .size:           8
        .value_kind:     global_buffer
      - .actual_access:  write_only
        .address_space:  global
        .offset:         48
        .size:           8
        .value_kind:     global_buffer
      - .offset:         56
        .size:           4
        .value_kind:     by_value
      - .offset:         60
        .size:           4
        .value_kind:     by_value
    .group_segment_fixed_size: 256
    .kernarg_segment_align: 8
    .kernarg_segment_size: 64
    .language:       OpenCL C
    .language_version:
      - 2
      - 0
    .max_flat_workgroup_size: 256
    .name:           _ZN9rocsparseL28csrgeam_nnz_multipass_deviceILj256ELj32ElllEEvllPKT1_PKT2_S3_S6_PT3_21rocsparse_index_base_S9_
    .private_segment_fixed_size: 0
    .sgpr_count:     27
    .sgpr_spill_count: 0
    .symbol:         _ZN9rocsparseL28csrgeam_nnz_multipass_deviceILj256ELj32ElllEEvllPKT1_PKT2_S3_S6_PT3_21rocsparse_index_base_S9_.kd
    .uniform_work_group_size: 1
    .uses_dynamic_stack: false
    .vgpr_count:     28
    .vgpr_spill_count: 0
    .wavefront_size: 64
  - .args:
      - .offset:         0
        .size:           8
        .value_kind:     by_value
      - .offset:         8
        .size:           8
        .value_kind:     by_value
      - .actual_access:  read_only
        .address_space:  global
        .offset:         16
        .size:           8
        .value_kind:     global_buffer
      - .actual_access:  read_only
        .address_space:  global
        .offset:         24
        .size:           8
        .value_kind:     global_buffer
      - .actual_access:  read_only
        .address_space:  global
        .offset:         32
        .size:           8
        .value_kind:     global_buffer
      - .actual_access:  read_only
        .address_space:  global
        .offset:         40
        .size:           8
        .value_kind:     global_buffer
      - .actual_access:  write_only
        .address_space:  global
        .offset:         48
        .size:           8
        .value_kind:     global_buffer
      - .offset:         56
        .size:           4
        .value_kind:     by_value
      - .offset:         60
        .size:           4
        .value_kind:     by_value
    .group_segment_fixed_size: 256
    .kernarg_segment_align: 8
    .kernarg_segment_size: 64
    .language:       OpenCL C
    .language_version:
      - 2
      - 0
    .max_flat_workgroup_size: 256
    .name:           _ZN9rocsparseL28csrgeam_nnz_multipass_deviceILj256ELj64ElliEEvllPKT1_PKT2_S3_S6_PT3_21rocsparse_index_base_S9_
    .private_segment_fixed_size: 0
    .sgpr_count:     25
    .sgpr_spill_count: 0
    .symbol:         _ZN9rocsparseL28csrgeam_nnz_multipass_deviceILj256ELj64ElliEEvllPKT1_PKT2_S3_S6_PT3_21rocsparse_index_base_S9_.kd
    .uniform_work_group_size: 1
    .uses_dynamic_stack: false
    .vgpr_count:     30
    .vgpr_spill_count: 0
    .wavefront_size: 64
  - .args:
      - .offset:         0
        .size:           8
        .value_kind:     by_value
      - .offset:         8
        .size:           8
        .value_kind:     by_value
      - .actual_access:  read_only
        .address_space:  global
        .offset:         16
        .size:           8
        .value_kind:     global_buffer
      - .actual_access:  read_only
        .address_space:  global
        .offset:         24
        .size:           8
        .value_kind:     global_buffer
      - .actual_access:  read_only
        .address_space:  global
        .offset:         32
        .size:           8
        .value_kind:     global_buffer
      - .actual_access:  read_only
        .address_space:  global
        .offset:         40
        .size:           8
        .value_kind:     global_buffer
      - .actual_access:  write_only
        .address_space:  global
        .offset:         48
        .size:           8
        .value_kind:     global_buffer
      - .offset:         56
        .size:           4
        .value_kind:     by_value
      - .offset:         60
        .size:           4
        .value_kind:     by_value
    .group_segment_fixed_size: 256
    .kernarg_segment_align: 8
    .kernarg_segment_size: 64
    .language:       OpenCL C
    .language_version:
      - 2
      - 0
    .max_flat_workgroup_size: 256
    .name:           _ZN9rocsparseL28csrgeam_nnz_multipass_deviceILj256ELj64ElllEEvllPKT1_PKT2_S3_S6_PT3_21rocsparse_index_base_S9_
    .private_segment_fixed_size: 0
    .sgpr_count:     27
    .sgpr_spill_count: 0
    .symbol:         _ZN9rocsparseL28csrgeam_nnz_multipass_deviceILj256ELj64ElllEEvllPKT1_PKT2_S3_S6_PT3_21rocsparse_index_base_S9_.kd
    .uniform_work_group_size: 1
    .uses_dynamic_stack: false
    .vgpr_count:     30
    .vgpr_spill_count: 0
    .wavefront_size: 64
amdhsa.target:   amdgcn-amd-amdhsa--gfx906
amdhsa.version:
  - 1
  - 2
...

	.end_amdgpu_metadata
